;; amdgpu-corpus repo=ROCm/rocFFT kind=compiled arch=gfx1030 opt=O3
	.text
	.amdgcn_target "amdgcn-amd-amdhsa--gfx1030"
	.amdhsa_code_object_version 6
	.protected	bluestein_single_back_len357_dim1_dp_op_CI_CI ; -- Begin function bluestein_single_back_len357_dim1_dp_op_CI_CI
	.globl	bluestein_single_back_len357_dim1_dp_op_CI_CI
	.p2align	8
	.type	bluestein_single_back_len357_dim1_dp_op_CI_CI,@function
bluestein_single_back_len357_dim1_dp_op_CI_CI: ; @bluestein_single_back_len357_dim1_dp_op_CI_CI
; %bb.0:
	s_load_dwordx4 s[8:11], s[4:5], 0x28
	v_mul_u32_u24_e32 v1, 0xf10, v0
	s_mov_b64 s[62:63], s[2:3]
	s_mov_b64 s[60:61], s[0:1]
	s_mov_b32 s0, exec_lo
	s_add_u32 s60, s60, s7
	v_lshrrev_b32_e32 v1, 16, v1
	s_addc_u32 s61, s61, 0
	v_mad_u64_u32 v[86:87], null, s6, 11, v[1:2]
	v_mov_b32_e32 v87, 0
	s_waitcnt lgkmcnt(0)
	v_cmpx_gt_u64_e64 s[8:9], v[86:87]
	s_cbranch_execz .LBB0_15
; %bb.1:
	s_load_dwordx4 s[0:3], s[4:5], 0x18
	v_mul_lo_u16 v1, v1, 17
	v_mov_b32_e32 v87, v86
	s_waitcnt lgkmcnt(0)
	s_load_dwordx4 s[12:15], s[0:1], 0x0
	s_load_dwordx2 s[6:7], s[4:5], 0x0
	v_sub_nc_u16 v2, v0, v1
	v_and_b32_e32 v94, 0xffff, v2
	v_lshlrev_b32_e32 v95, 4, v94
	s_waitcnt lgkmcnt(0)
	s_clause 0x1
	global_load_dwordx4 v[146:149], v95, s[6:7]
	global_load_dwordx4 v[100:103], v95, s[6:7] offset:336
	v_add_co_u32 v8, s0, s6, v95
	v_add_co_ci_u32_e64 v9, null, s7, 0, s0
	s_clause 0x4
	global_load_dwordx4 v[112:115], v95, s[6:7] offset:672
	global_load_dwordx4 v[104:107], v95, s[6:7] offset:1008
	;; [unrolled: 1-line block ×5, first 2 shown]
	v_add_co_u32 v12, vcc_lo, 0x800, v8
	v_add_co_ci_u32_e32 v13, vcc_lo, 0, v9, vcc_lo
	v_add_co_u32 v70, vcc_lo, 0x1000, v8
	buffer_store_dword v8, off, s[60:63], 0 offset:220 ; 4-byte Folded Spill
	buffer_store_dword v9, off, s[60:63], 0 offset:224 ; 4-byte Folded Spill
	s_clause 0x4
	global_load_dwordx4 v[166:169], v[12:13], off offset:304
	global_load_dwordx4 v[162:165], v[12:13], off offset:640
	;; [unrolled: 1-line block ×5, first 2 shown]
	buffer_store_dword v12, off, s[60:63], 0 offset:228 ; 4-byte Folded Spill
	buffer_store_dword v13, off, s[60:63], 0 offset:232 ; 4-byte Folded Spill
	v_mad_u64_u32 v[0:1], null, s14, v86, 0
	v_mad_u64_u32 v[3:4], null, s12, v94, 0
	s_mul_i32 s1, s13, 21
	s_mul_hi_u32 s8, s12, 21
	s_mul_i32 s0, s12, 21
	s_add_i32 s1, s8, s1
	v_mad_u64_u32 v[5:6], null, s15, v86, v[1:2]
	v_mov_b32_e32 v1, v4
	s_lshl_b64 s[16:17], s[0:1], 4
	s_load_dwordx2 s[14:15], s[4:5], 0x38
	v_mad_u64_u32 v[6:7], null, s13, v94, v[1:2]
	v_mov_b32_e32 v1, v5
	v_lshlrev_b64 v[0:1], 4, v[0:1]
	v_mov_b32_e32 v4, v6
	v_lshlrev_b64 v[6:7], 4, v[3:4]
	v_mul_hi_u32 v3, 0xba2e8ba3, v86
	v_lshrrev_b32_e32 v3, 3, v3
	v_mul_lo_u32 v3, v3, 11
	v_sub_nc_u32_e32 v3, v86, v3
	v_mul_u32_u24_e32 v3, 0x165, v3
	v_lshlrev_b32_e32 v170, 4, v3
	v_add_co_ci_u32_e32 v71, vcc_lo, 0, v9, vcc_lo
	v_add_co_u32 v4, vcc_lo, s10, v0
	v_add_co_ci_u32_e32 v5, vcc_lo, s11, v1, vcc_lo
	global_load_dwordx4 v[118:121], v[12:13], off offset:1984
	v_add_co_u32 v0, vcc_lo, v4, v6
	v_add_co_ci_u32_e32 v1, vcc_lo, v5, v7, vcc_lo
	s_clause 0x1
	global_load_dwordx4 v[122:125], v[70:71], off offset:272
	global_load_dwordx4 v[138:141], v[70:71], off offset:608
	v_add_co_u32 v10, vcc_lo, v0, s16
	v_add_co_ci_u32_e32 v11, vcc_lo, s17, v1, vcc_lo
	v_add_co_u32 v14, vcc_lo, v10, s16
	v_add_co_ci_u32_e32 v15, vcc_lo, s17, v11, vcc_lo
	s_clause 0x1
	global_load_dwordx4 v[6:9], v[0:1], off
	global_load_dwordx4 v[10:13], v[10:11], off
	v_add_co_u32 v18, vcc_lo, v14, s16
	v_add_co_ci_u32_e32 v19, vcc_lo, s17, v15, vcc_lo
	v_add_co_u32 v22, vcc_lo, v18, s16
	v_add_co_ci_u32_e32 v23, vcc_lo, s17, v19, vcc_lo
	s_clause 0x1
	global_load_dwordx4 v[14:17], v[14:15], off
	global_load_dwordx4 v[18:21], v[18:19], off
	v_add_co_u32 v0, vcc_lo, v22, s16
	v_add_co_ci_u32_e32 v1, vcc_lo, s17, v23, vcc_lo
	global_load_dwordx4 v[22:25], v[22:23], off
	v_add_co_u32 v30, vcc_lo, v0, s16
	v_add_co_ci_u32_e32 v31, vcc_lo, s17, v1, vcc_lo
	;; [unrolled: 3-line block ×11, first 2 shown]
	v_add_co_u32 v0, vcc_lo, v66, s16
	v_add_co_ci_u32_e32 v1, vcc_lo, s17, v67, vcc_lo
	global_load_dwordx4 v[62:65], v[62:63], off
	global_load_dwordx4 v[66:69], v[66:67], off
	global_load_dwordx4 v[154:157], v[70:71], off offset:944
	buffer_store_dword v70, off, s[60:63], 0 offset:212 ; 4-byte Folded Spill
	buffer_store_dword v71, off, s[60:63], 0 offset:216 ; 4-byte Folded Spill
	v_cmp_gt_u16_e32 vcc_lo, 4, v2
	v_or_b32_e32 v2, 0x50, v94
	global_load_dwordx4 v[158:161], v[70:71], off offset:1280
	global_load_dwordx4 v[70:73], v[0:1], off
	s_waitcnt vmcnt(18)
	v_mul_f64 v[74:75], v[8:9], v[148:149]
	s_waitcnt vmcnt(17)
	v_mul_f64 v[78:79], v[12:13], v[102:103]
	;; [unrolled: 2-line block ×3, first 2 shown]
	buffer_store_dword v87, off, s[60:63], 0 offset:252 ; 4-byte Folded Spill
	buffer_store_dword v88, off, s[60:63], 0 offset:256 ; 4-byte Folded Spill
	s_waitcnt vmcnt(15)
	v_mul_f64 v[86:87], v[20:21], v[106:107]
	s_waitcnt vmcnt(14)
	v_mul_f64 v[90:91], v[24:25], v[110:111]
	;; [unrolled: 2-line block ×3, first 2 shown]
	v_mul_f64 v[76:77], v[6:7], v[148:149]
	v_mul_f64 v[80:81], v[10:11], v[102:103]
	s_load_dwordx4 s[8:11], s[2:3], 0x0
	buffer_store_dword v3, off, s[60:63], 0 offset:664 ; 4-byte Folded Spill
	v_mul_f64 v[84:85], v[14:15], v[114:115]
	v_mul_f64 v[88:89], v[18:19], v[106:107]
	;; [unrolled: 1-line block ×4, first 2 shown]
	v_fma_f64 v[6:7], v[6:7], v[146:147], v[74:75]
	buffer_store_dword v146, off, s[60:63], 0 offset:424 ; 4-byte Folded Spill
	buffer_store_dword v147, off, s[60:63], 0 offset:428 ; 4-byte Folded Spill
	buffer_store_dword v148, off, s[60:63], 0 offset:432 ; 4-byte Folded Spill
	buffer_store_dword v149, off, s[60:63], 0 offset:436 ; 4-byte Folded Spill
	v_fma_f64 v[10:11], v[10:11], v[100:101], v[78:79]
	buffer_store_dword v100, off, s[60:63], 0 offset:236 ; 4-byte Folded Spill
	buffer_store_dword v101, off, s[60:63], 0 offset:240 ; 4-byte Folded Spill
	buffer_store_dword v102, off, s[60:63], 0 offset:244 ; 4-byte Folded Spill
	buffer_store_dword v103, off, s[60:63], 0 offset:248 ; 4-byte Folded Spill
	;; [unrolled: 5-line block ×6, first 2 shown]
	s_waitcnt vmcnt(12)
	v_mul_f64 v[74:75], v[32:33], v[152:153]
	s_waitcnt vmcnt(11)
	v_mul_f64 v[78:79], v[36:37], v[168:169]
	;; [unrolled: 2-line block ×8, first 2 shown]
	v_mul_f64 v[102:103], v[54:55], v[120:121]
	s_waitcnt vmcnt(0)
	v_mul_f64 v[114:115], v[72:73], v[160:161]
	v_mul_f64 v[116:117], v[70:71], v[160:161]
	v_fma_f64 v[8:9], v[8:9], v[146:147], -v[76:77]
	v_mul_f64 v[76:77], v[30:31], v[152:153]
	v_fma_f64 v[12:13], v[12:13], v[100:101], -v[80:81]
	v_mul_f64 v[100:101], v[56:57], v[120:121]
	v_fma_f64 v[30:31], v[30:31], v[150:151], v[74:75]
	v_mul_f64 v[74:75], v[60:61], v[124:125]
	buffer_store_dword v150, off, s[60:63], 0 offset:440 ; 4-byte Folded Spill
	buffer_store_dword v151, off, s[60:63], 0 offset:444 ; 4-byte Folded Spill
	;; [unrolled: 1-line block ×4, first 2 shown]
	v_mul_f64 v[80:81], v[34:35], v[168:169]
	v_fma_f64 v[34:35], v[34:35], v[166:167], v[78:79]
	buffer_store_dword v166, off, s[60:63], 0 offset:504 ; 4-byte Folded Spill
	buffer_store_dword v167, off, s[60:63], 0 offset:508 ; 4-byte Folded Spill
	buffer_store_dword v168, off, s[60:63], 0 offset:512 ; 4-byte Folded Spill
	buffer_store_dword v169, off, s[60:63], 0 offset:516 ; 4-byte Folded Spill
	v_fma_f64 v[16:17], v[16:17], v[112:113], -v[84:85]
	v_mul_f64 v[84:85], v[38:39], v[164:165]
	v_fma_f64 v[38:39], v[38:39], v[162:163], v[82:83]
	buffer_store_dword v162, off, s[60:63], 0 offset:488 ; 4-byte Folded Spill
	buffer_store_dword v163, off, s[60:63], 0 offset:492 ; 4-byte Folded Spill
	buffer_store_dword v164, off, s[60:63], 0 offset:496 ; 4-byte Folded Spill
	buffer_store_dword v165, off, s[60:63], 0 offset:500 ; 4-byte Folded Spill
	v_fma_f64 v[20:21], v[20:21], v[104:105], -v[88:89]
	;; [unrolled: 7-line block ×4, first 2 shown]
	v_mul_f64 v[98:99], v[50:51], v[128:129]
	v_fma_f64 v[50:51], v[50:51], v[126:127], v[96:97]
	buffer_store_dword v126, off, s[60:63], 0 offset:340 ; 4-byte Folded Spill
	buffer_store_dword v127, off, s[60:63], 0 offset:344 ; 4-byte Folded Spill
	;; [unrolled: 1-line block ×4, first 2 shown]
	v_fma_f64 v[54:55], v[54:55], v[118:119], v[100:101]
	buffer_store_dword v118, off, s[60:63], 0 offset:308 ; 4-byte Folded Spill
	buffer_store_dword v119, off, s[60:63], 0 offset:312 ; 4-byte Folded Spill
	buffer_store_dword v120, off, s[60:63], 0 offset:316 ; 4-byte Folded Spill
	buffer_store_dword v121, off, s[60:63], 0 offset:320 ; 4-byte Folded Spill
	v_mul_f64 v[104:105], v[58:59], v[124:125]
	v_fma_f64 v[58:59], v[58:59], v[122:123], v[74:75]
	buffer_store_dword v122, off, s[60:63], 0 offset:324 ; 4-byte Folded Spill
	buffer_store_dword v123, off, s[60:63], 0 offset:328 ; 4-byte Folded Spill
	buffer_store_dword v124, off, s[60:63], 0 offset:332 ; 4-byte Folded Spill
	buffer_store_dword v125, off, s[60:63], 0 offset:336 ; 4-byte Folded Spill
	v_mul_f64 v[108:109], v[62:63], v[140:141]
	;; [unrolled: 6-line block ×3, first 2 shown]
	v_fma_f64 v[66:67], v[66:67], v[154:155], v[110:111]
	buffer_store_dword v154, off, s[60:63], 0 offset:456 ; 4-byte Folded Spill
	buffer_store_dword v155, off, s[60:63], 0 offset:460 ; 4-byte Folded Spill
	buffer_store_dword v156, off, s[60:63], 0 offset:464 ; 4-byte Folded Spill
	buffer_store_dword v157, off, s[60:63], 0 offset:468 ; 4-byte Folded Spill
	v_fma_f64 v[70:71], v[70:71], v[158:159], v[114:115]
	buffer_store_dword v158, off, s[60:63], 0 offset:472 ; 4-byte Folded Spill
	buffer_store_dword v159, off, s[60:63], 0 offset:476 ; 4-byte Folded Spill
	buffer_store_dword v160, off, s[60:63], 0 offset:480 ; 4-byte Folded Spill
	buffer_store_dword v161, off, s[60:63], 0 offset:484 ; 4-byte Folded Spill
	v_fma_f64 v[32:33], v[32:33], v[150:151], -v[76:77]
	v_add_nc_u32_e32 v76, v95, v170
	v_fma_f64 v[36:37], v[36:37], v[166:167], -v[80:81]
	v_fma_f64 v[40:41], v[40:41], v[162:163], -v[84:85]
	;; [unrolled: 1-line block ×6, first 2 shown]
	ds_write_b128 v76, v[6:9]
	ds_write_b128 v76, v[10:13] offset:336
	ds_write_b128 v76, v[14:17] offset:672
	;; [unrolled: 1-line block ×12, first 2 shown]
	v_fma_f64 v[60:61], v[60:61], v[122:123], -v[104:105]
	v_fma_f64 v[64:65], v[64:65], v[138:139], -v[108:109]
	;; [unrolled: 1-line block ×4, first 2 shown]
	buffer_store_dword v2, off, s[60:63], 0 offset:420 ; 4-byte Folded Spill
	v_or_b32_e32 v2, 0xa4, v94
	buffer_store_dword v2, off, s[60:63], 0 offset:700 ; 4-byte Folded Spill
	v_or_b32_e32 v2, 0xf8, v94
	buffer_store_dword v2, off, s[60:63], 0 offset:696 ; 4-byte Folded Spill
	buffer_store_dword v94, off, s[60:63], 0 ; 4-byte Folded Spill
	v_or_b32_e32 v2, 0x14c, v94
	buffer_store_dword v2, off, s[60:63], 0 offset:692 ; 4-byte Folded Spill
	ds_write_b128 v76, v[58:61] offset:4368
	ds_write_b128 v76, v[62:65] offset:4704
	;; [unrolled: 1-line block ×4, first 2 shown]
	s_and_saveexec_b32 s1, vcc_lo
	s_cbranch_execz .LBB0_3
; %bb.2:
	s_clause 0x2
	buffer_load_dword v14, off, s[60:63], 0 offset:420
	buffer_load_dword v46, off, s[60:63], 0 offset:220
	;; [unrolled: 1-line block ×3, first 2 shown]
	v_mad_u64_u32 v[12:13], null, 0xffffec10, s12, v[0:1]
	s_mul_i32 s0, s13, 0xffffec10
	s_mul_i32 s3, s13, 0x2a0
	s_sub_i32 s0, s0, s12
	s_mul_hi_u32 s18, s12, 0x2a0
	s_mul_i32 s2, s12, 0x2a0
	s_add_i32 s3, s18, s3
	v_add_nc_u32_e32 v13, s0, v13
	s_waitcnt vmcnt(0)
	s_clause 0x1
	global_load_dwordx4 v[6:9], v[46:47], off offset:272
	global_load_dwordx4 v[0:3], v[46:47], off offset:608
	buffer_load_dword v59, off, s[60:63], 0 ; 4-byte Folded Reload
	v_mad_u64_u32 v[10:11], null, s12, v14, 0
	v_mad_u64_u32 v[14:15], null, s13, v14, v[11:12]
	v_mov_b32_e32 v11, v14
	v_add_co_u32 v14, s0, v12, s16
	v_add_co_ci_u32_e64 v15, s0, s17, v13, s0
	v_lshlrev_b64 v[10:11], 4, v[10:11]
	v_add_co_u32 v26, s0, v14, s16
	v_add_co_ci_u32_e64 v27, s0, s17, v15, s0
	v_add_co_u32 v22, s0, v4, v10
	v_add_co_ci_u32_e64 v23, s0, v5, v11, s0
	;; [unrolled: 2-line block ×3, first 2 shown]
	global_load_dwordx4 v[10:13], v[12:13], off
	global_load_dwordx4 v[14:17], v[14:15], off
	;; [unrolled: 1-line block ×4, first 2 shown]
	s_waitcnt vmcnt(4)
	v_or_b32_e32 v60, 0xa4, v59
	v_or_b32_e32 v84, 0xf8, v59
	;; [unrolled: 1-line block ×3, first 2 shown]
	v_mad_u64_u32 v[50:51], null, s12, v60, 0
	v_mad_u64_u32 v[74:75], null, s12, v84, 0
	;; [unrolled: 1-line block ×3, first 2 shown]
	v_lshlrev_b32_e32 v89, 4, v83
	v_mov_b32_e32 v28, v51
	v_mov_b32_e32 v58, v75
	v_mad_u64_u32 v[40:41], null, s13, v60, v[28:29]
	s_clause 0x1
	global_load_dwordx4 v[26:29], v[46:47], off offset:944
	global_load_dwordx4 v[30:33], v[46:47], off offset:1280
	global_load_dwordx4 v[34:37], v[38:39], off
	v_add_co_u32 v38, s0, v38, s16
	v_add_co_ci_u32_e64 v39, s0, s17, v39, s0
	v_mad_u64_u32 v[58:59], null, s13, v84, v[58:59]
	v_mov_b32_e32 v51, v40
	v_add_co_u32 v54, s0, v38, s16
	v_add_co_ci_u32_e64 v55, s0, s17, v39, s0
	v_lshlrev_b64 v[56:57], 4, v[50:51]
	v_lshlrev_b32_e32 v60, 4, v60
	v_mov_b32_e32 v59, v78
	global_load_dwordx4 v[38:41], v[38:39], off
	s_clause 0x1
	global_load_dwordx4 v[42:45], v[46:47], off offset:1616
	global_load_dwordx4 v[46:49], v[46:47], off offset:1952
	global_load_dwordx4 v[50:53], v[54:55], off
	v_mov_b32_e32 v75, v58
	v_add_co_u32 v56, s0, v4, v56
	v_add_co_ci_u32_e64 v57, s0, v5, v57, s0
	v_add_co_u32 v79, s0, v54, s2
	v_add_co_ci_u32_e64 v80, s0, s3, v55, s0
	v_mad_u64_u32 v[81:82], null, s13, v83, v[59:60]
	global_load_dwordx4 v[54:57], v[56:57], off
	global_load_dwordx4 v[58:61], v60, s[6:7]
	global_load_dwordx4 v[62:65], v[79:80], off
	s_clause 0x1
	buffer_load_dword v108, off, s[60:63], 0 offset:228
	buffer_load_dword v109, off, s[60:63], 0 offset:232
	v_lshlrev_b64 v[74:75], 4, v[74:75]
	v_add_co_u32 v93, s0, v79, s16
	v_mov_b32_e32 v78, v81
	v_add_co_ci_u32_e64 v94, s0, s17, v80, s0
	v_add_co_u32 v74, s0, v4, v74
	v_lshlrev_b64 v[77:78], 4, v[77:78]
	v_add_co_ci_u32_e64 v75, s0, v5, v75, s0
	v_lshlrev_b32_e32 v81, 4, v84
	s_waitcnt vmcnt(0)
	s_clause 0x1
	global_load_dwordx4 v[66:69], v[108:109], off offset:240
	global_load_dwordx4 v[70:73], v[108:109], off offset:912
	v_add_co_u32 v4, s0, v4, v77
	v_add_co_ci_u32_e64 v5, s0, v5, v78, s0
	v_add_co_u32 v100, s0, v93, s16
	v_add_co_ci_u32_e64 v101, s0, s17, v94, s0
	global_load_dwordx4 v[77:80], v[74:75], off
	global_load_dwordx4 v[81:84], v81, s[6:7]
	global_load_dwordx4 v[85:88], v[4:5], off
	global_load_dwordx4 v[89:92], v89, s[6:7]
	v_add_co_u32 v4, s0, v100, s2
	v_add_co_ci_u32_e64 v5, s0, s3, v101, s0
	global_load_dwordx4 v[96:99], v[93:94], off
	global_load_dwordx4 v[100:103], v[100:101], off
	s_clause 0x1
	global_load_dwordx4 v[104:107], v[108:109], off offset:1248
	global_load_dwordx4 v[108:111], v[108:109], off offset:1584
	global_load_dwordx4 v[112:115], v[4:5], off
	s_clause 0x1
	buffer_load_dword v93, off, s[60:63], 0 offset:212
	buffer_load_dword v94, off, s[60:63], 0 offset:216
	v_add_co_u32 v4, s0, v4, s16
	v_add_co_ci_u32_e64 v5, s0, s17, v5, s0
	v_mul_f64 v[144:145], v[20:21], v[28:29]
	v_add_co_u32 v74, s0, v4, s16
	v_add_co_ci_u32_e64 v75, s0, s17, v5, s0
	global_load_dwordx4 v[120:123], v[4:5], off
	v_add_co_u32 v4, s0, v74, s2
	v_add_co_ci_u32_e64 v5, s0, s3, v75, s0
	v_mul_f64 v[146:147], v[36:37], v[44:45]
	v_mul_f64 v[148:149], v[40:41], v[48:49]
	;; [unrolled: 1-line block ×9, first 2 shown]
	v_fma_f64 v[22:23], v[22:23], v[30:31], v[150:151]
	v_fma_f64 v[24:25], v[24:25], v[30:31], -v[32:33]
	s_waitcnt vmcnt(13)
	v_mul_f64 v[158:159], v[52:53], v[68:69]
	v_mul_f64 v[68:69], v[50:51], v[68:69]
	s_waitcnt vmcnt(10)
	v_mul_f64 v[154:155], v[79:80], v[83:84]
	v_mul_f64 v[83:84], v[77:78], v[83:84]
	;; [unrolled: 3-line block ×3, first 2 shown]
	s_waitcnt vmcnt(1)
	s_clause 0x1
	global_load_dwordx4 v[116:119], v[93:94], off offset:208
	global_load_dwordx4 v[124:127], v[93:94], off offset:544
	global_load_dwordx4 v[128:131], v[74:75], off
	s_clause 0x1
	global_load_dwordx4 v[132:135], v[93:94], off offset:880
	global_load_dwordx4 v[136:139], v[93:94], off offset:1552
	global_load_dwordx4 v[140:143], v[4:5], off
	v_mul_f64 v[4:5], v[12:13], v[8:9]
	v_mul_f64 v[8:9], v[10:11], v[8:9]
	;; [unrolled: 1-line block ×4, first 2 shown]
	v_fma_f64 v[30:31], v[77:78], v[81:82], v[154:155]
	v_fma_f64 v[32:33], v[79:80], v[81:82], -v[83:84]
	v_fma_f64 v[2:3], v[10:11], v[6:7], v[4:5]
	v_fma_f64 v[4:5], v[12:13], v[6:7], -v[8:9]
	;; [unrolled: 2-line block ×3, first 2 shown]
	v_mul_f64 v[0:1], v[64:65], v[72:73]
	v_mul_f64 v[72:73], v[62:63], v[72:73]
	;; [unrolled: 1-line block ×6, first 2 shown]
	v_fma_f64 v[10:11], v[18:19], v[26:27], v[144:145]
	v_fma_f64 v[14:15], v[34:35], v[42:43], v[146:147]
	;; [unrolled: 1-line block ×3, first 2 shown]
	v_fma_f64 v[12:13], v[20:21], v[26:27], -v[28:29]
	v_fma_f64 v[16:17], v[36:37], v[42:43], -v[44:45]
	;; [unrolled: 1-line block ×3, first 2 shown]
	v_fma_f64 v[38:39], v[50:51], v[66:67], v[158:159]
	v_fma_f64 v[40:41], v[52:53], v[66:67], -v[68:69]
	v_fma_f64 v[26:27], v[54:55], v[58:59], v[152:153]
	v_fma_f64 v[28:29], v[56:57], v[58:59], -v[60:61]
	;; [unrolled: 2-line block ×6, first 2 shown]
	s_waitcnt vmcnt(4)
	v_mul_f64 v[146:147], v[122:123], v[126:127]
	v_mul_f64 v[126:127], v[120:121], v[126:127]
	s_waitcnt vmcnt(2)
	v_mul_f64 v[148:149], v[130:131], v[134:135]
	v_mul_f64 v[144:145], v[114:115], v[118:119]
	;; [unrolled: 1-line block ×4, first 2 shown]
	s_waitcnt vmcnt(0)
	v_mul_f64 v[150:151], v[142:143], v[138:139]
	v_mul_f64 v[138:139], v[140:141], v[138:139]
	v_fma_f64 v[58:59], v[120:121], v[124:125], v[146:147]
	v_fma_f64 v[60:61], v[122:123], v[124:125], -v[126:127]
	v_fma_f64 v[62:63], v[128:129], v[132:133], v[148:149]
	v_fma_f64 v[54:55], v[112:113], v[116:117], v[144:145]
	v_fma_f64 v[56:57], v[114:115], v[116:117], -v[118:119]
	v_fma_f64 v[64:65], v[130:131], v[132:133], -v[134:135]
	v_fma_f64 v[66:67], v[140:141], v[136:137], v[150:151]
	v_fma_f64 v[68:69], v[142:143], v[136:137], -v[138:139]
	ds_write_b128 v76, v[2:5] offset:272
	ds_write_b128 v76, v[6:9] offset:608
	;; [unrolled: 1-line block ×17, first 2 shown]
.LBB0_3:
	s_or_b32 exec_lo, exec_lo, s1
	buffer_store_dword v170, off, s[60:63], 0 offset:520 ; 4-byte Folded Spill
	s_waitcnt lgkmcnt(0)
	s_waitcnt_vscnt null, 0x0
	s_barrier
	buffer_gl0_inv
	ds_read_b128 v[52:55], v76
	ds_read_b128 v[60:63], v76 offset:336
	ds_read_b128 v[48:51], v76 offset:672
	;; [unrolled: 1-line block ×16, first 2 shown]
	s_load_dwordx2 s[0:1], s[4:5], 0x8
                                        ; implicit-def: $vgpr120_vgpr121
                                        ; implicit-def: $vgpr152_vgpr153
                                        ; implicit-def: $vgpr156_vgpr157
                                        ; implicit-def: $vgpr164_vgpr165
                                        ; implicit-def: $vgpr168_vgpr169
                                        ; implicit-def: $vgpr176_vgpr177
                                        ; implicit-def: $vgpr184_vgpr185
                                        ; implicit-def: $vgpr180_vgpr181
                                        ; implicit-def: $vgpr172_vgpr173
                                        ; implicit-def: $vgpr160_vgpr161
                                        ; implicit-def: $vgpr144_vgpr145
                                        ; implicit-def: $vgpr140_vgpr141
                                        ; implicit-def: $vgpr132_vgpr133
                                        ; implicit-def: $vgpr128_vgpr129
                                        ; implicit-def: $vgpr116_vgpr117
                                        ; implicit-def: $vgpr100_vgpr101
                                        ; implicit-def: $vgpr104_vgpr105
	s_and_saveexec_b32 s2, vcc_lo
	s_cbranch_execz .LBB0_5
; %bb.4:
	ds_read_b128 v[120:123], v76 offset:272
	ds_read_b128 v[152:155], v76 offset:608
	;; [unrolled: 1-line block ×17, first 2 shown]
.LBB0_5:
	s_or_b32 exec_lo, exec_lo, s2
	buffer_load_dword v68, off, s[60:63], 0 ; 4-byte Folded Reload
	s_waitcnt lgkmcnt(0)
	v_add_f64 v[70:71], v[54:55], v[62:63]
	s_mov_b32 s44, 0x5d8e7cdc
	s_mov_b32 s48, 0x2a9d6da3
	;; [unrolled: 1-line block ×21, first 2 shown]
	v_add_f64 v[70:71], v[70:71], v[50:51]
	s_mov_b32 s24, 0x6ed5f1bb
	s_mov_b32 s12, 0x910ea3b9
	;; [unrolled: 1-line block ×21, first 2 shown]
	v_add_f64 v[70:71], v[70:71], v[42:43]
	s_mov_b32 s39, 0x3fe58eea
	s_mov_b32 s38, s48
	;; [unrolled: 1-line block ×6, first 2 shown]
	v_add_f64 v[246:247], v[176:177], v[132:133]
	v_add_f64 v[248:249], v[178:179], v[134:135]
	v_add_f64 v[198:199], v[182:183], -v[146:147]
	v_add_f64 v[250:251], v[180:181], -v[144:145]
	v_add_f64 v[70:71], v[70:71], v[34:35]
	v_add_f64 v[70:71], v[70:71], v[26:27]
	;; [unrolled: 1-line block ×12, first 2 shown]
	s_waitcnt vmcnt(0)
	v_add_co_u32 v68, null, v68, 17
	buffer_store_dword v68, off, s[60:63], 0 offset:524 ; 4-byte Folded Spill
	v_add_f64 v[68:69], v[52:53], v[60:61]
	v_add_f64 v[70:71], v[70:71], v[66:67]
	;; [unrolled: 1-line block ×17, first 2 shown]
	buffer_store_dword v68, off, s[60:63], 0 offset:528 ; 4-byte Folded Spill
	buffer_store_dword v69, off, s[60:63], 0 offset:532 ; 4-byte Folded Spill
	buffer_store_dword v70, off, s[60:63], 0 offset:536 ; 4-byte Folded Spill
	buffer_store_dword v71, off, s[60:63], 0 offset:540 ; 4-byte Folded Spill
	v_add_f64 v[70:71], v[62:63], v[66:67]
	v_add_f64 v[62:63], v[62:63], -v[66:67]
	v_add_f64 v[68:69], v[60:61], v[64:65]
	v_add_f64 v[60:61], v[60:61], -v[64:65]
	v_mul_f64 v[64:65], v[62:63], s[44:45]
	v_mul_f64 v[77:78], v[62:63], s[48:49]
	;; [unrolled: 1-line block ×16, first 2 shown]
	v_fma_f64 v[66:67], v[68:69], s[2:3], -v[64:65]
	v_fma_f64 v[64:65], v[68:69], s[2:3], v[64:65]
	v_fma_f64 v[79:80], v[68:69], s[18:19], -v[77:78]
	v_fma_f64 v[77:78], v[68:69], s[18:19], v[77:78]
	;; [unrolled: 2-line block ×8, first 2 shown]
	v_fma_f64 v[74:75], v[70:71], s[2:3], v[72:73]
	v_fma_f64 v[72:73], v[70:71], s[2:3], -v[72:73]
	v_fma_f64 v[83:84], v[70:71], s[18:19], v[81:82]
	v_fma_f64 v[81:82], v[70:71], s[18:19], -v[81:82]
	;; [unrolled: 2-line block ×3, first 2 shown]
	v_add_f64 v[66:67], v[52:53], v[66:67]
	v_add_f64 v[64:65], v[52:53], v[64:65]
	;; [unrolled: 1-line block ×7, first 2 shown]
	v_fma_f64 v[108:109], v[70:71], s[16:17], v[98:99]
	v_add_f64 v[93:94], v[52:53], v[93:94]
	v_fma_f64 v[98:99], v[70:71], s[16:17], -v[98:99]
	v_add_f64 v[112:113], v[52:53], v[112:113]
	v_fma_f64 v[124:125], v[70:71], s[22:23], v[114:115]
	v_add_f64 v[110:111], v[52:53], v[110:111]
	v_fma_f64 v[114:115], v[70:71], s[22:23], -v[114:115]
	v_add_f64 v[136:137], v[52:53], v[136:137]
	;; [unrolled: 4-line block ×5, first 2 shown]
	v_add_f64 v[50:51], v[50:51], -v[58:59]
	v_add_f64 v[74:75], v[54:55], v[74:75]
	v_add_f64 v[72:73], v[54:55], v[72:73]
	;; [unrolled: 1-line block ×17, first 2 shown]
	v_add_f64 v[48:49], v[48:49], -v[56:57]
	v_mul_f64 v[56:57], v[50:51], s[48:49]
	v_fma_f64 v[58:59], v[60:61], s[18:19], -v[56:57]
	v_fma_f64 v[56:57], v[60:61], s[18:19], v[56:57]
	v_add_f64 v[58:59], v[58:59], v[66:67]
	v_mul_f64 v[66:67], v[48:49], s[48:49]
	v_add_f64 v[56:57], v[56:57], v[64:65]
	v_fma_f64 v[68:69], v[62:63], s[18:19], v[66:67]
	v_fma_f64 v[64:65], v[62:63], s[18:19], -v[66:67]
	v_mul_f64 v[66:67], v[50:51], s[46:47]
	v_add_f64 v[68:69], v[68:69], v[74:75]
	v_add_f64 v[64:65], v[64:65], v[72:73]
	v_fma_f64 v[70:71], v[60:61], s[16:17], -v[66:67]
	v_mul_f64 v[72:73], v[48:49], s[46:47]
	v_fma_f64 v[66:67], v[60:61], s[16:17], v[66:67]
	v_add_f64 v[70:71], v[70:71], v[79:80]
	v_fma_f64 v[74:75], v[62:63], s[16:17], v[72:73]
	v_add_f64 v[66:67], v[66:67], v[77:78]
	v_fma_f64 v[72:73], v[62:63], s[16:17], -v[72:73]
	v_mul_f64 v[77:78], v[50:51], s[34:35]
	v_add_f64 v[74:75], v[74:75], v[83:84]
	v_add_f64 v[72:73], v[72:73], v[81:82]
	v_fma_f64 v[79:80], v[60:61], s[24:25], -v[77:78]
	v_mul_f64 v[81:82], v[48:49], s[34:35]
	v_fma_f64 v[77:78], v[60:61], s[24:25], v[77:78]
	v_add_f64 v[79:80], v[79:80], v[87:88]
	v_fma_f64 v[83:84], v[62:63], s[24:25], v[81:82]
	v_add_f64 v[77:78], v[77:78], v[85:86]
	;; [unrolled: 10-line block ×5, first 2 shown]
	v_fma_f64 v[114:115], v[62:63], s[22:23], -v[114:115]
	v_mul_f64 v[126:127], v[50:51], s[30:31]
	v_mul_f64 v[50:51], v[50:51], s[40:41]
	v_add_f64 v[124:125], v[124:125], v[148:149]
	v_add_f64 v[114:115], v[114:115], v[138:139]
	v_fma_f64 v[136:137], v[60:61], s[4:5], -v[126:127]
	v_mul_f64 v[138:139], v[48:49], s[30:31]
	v_mul_f64 v[48:49], v[48:49], s[40:41]
	v_fma_f64 v[126:127], v[60:61], s[4:5], v[126:127]
	v_add_f64 v[136:137], v[136:137], v[188:189]
	v_fma_f64 v[148:149], v[62:63], s[4:5], v[138:139]
	v_fma_f64 v[188:189], v[62:63], s[2:3], v[48:49]
	v_fma_f64 v[48:49], v[62:63], s[2:3], -v[48:49]
	v_add_f64 v[126:127], v[126:127], v[150:151]
	v_fma_f64 v[150:151], v[60:61], s[2:3], -v[50:51]
	v_fma_f64 v[50:51], v[60:61], s[2:3], v[50:51]
	v_fma_f64 v[138:139], v[62:63], s[4:5], -v[138:139]
	v_add_f64 v[148:149], v[148:149], v[192:193]
	v_add_f64 v[188:189], v[188:189], v[196:197]
	;; [unrolled: 1-line block ×4, first 2 shown]
	v_add_f64 v[42:43], v[42:43], -v[46:47]
	v_add_f64 v[50:51], v[50:51], v[52:53]
	v_add_f64 v[52:53], v[40:41], v[44:45]
	v_add_f64 v[40:41], v[40:41], -v[44:45]
	v_add_f64 v[138:139], v[138:139], v[190:191]
	v_add_f64 v[150:151], v[150:151], v[194:195]
	v_mul_f64 v[44:45], v[42:43], s[54:55]
	v_fma_f64 v[46:47], v[52:53], s[4:5], -v[44:45]
	v_fma_f64 v[44:45], v[52:53], s[4:5], v[44:45]
	v_add_f64 v[46:47], v[46:47], v[58:59]
	v_mul_f64 v[58:59], v[40:41], s[54:55]
	v_add_f64 v[44:45], v[44:45], v[56:57]
	v_fma_f64 v[60:61], v[54:55], s[4:5], v[58:59]
	v_fma_f64 v[56:57], v[54:55], s[4:5], -v[58:59]
	v_mul_f64 v[58:59], v[42:43], s[34:35]
	v_add_f64 v[60:61], v[60:61], v[68:69]
	v_add_f64 v[56:57], v[56:57], v[64:65]
	v_fma_f64 v[62:63], v[52:53], s[24:25], -v[58:59]
	v_fma_f64 v[58:59], v[52:53], s[24:25], v[58:59]
	v_mul_f64 v[64:65], v[40:41], s[34:35]
	v_add_f64 v[62:63], v[62:63], v[70:71]
	v_add_f64 v[58:59], v[58:59], v[66:67]
	v_mul_f64 v[66:67], v[42:43], s[58:59]
	v_fma_f64 v[68:69], v[54:55], s[24:25], v[64:65]
	v_fma_f64 v[64:65], v[54:55], s[24:25], -v[64:65]
	v_fma_f64 v[70:71], v[52:53], s[20:21], -v[66:67]
	v_fma_f64 v[66:67], v[52:53], s[20:21], v[66:67]
	v_add_f64 v[64:65], v[64:65], v[72:73]
	v_mul_f64 v[72:73], v[40:41], s[58:59]
	v_add_f64 v[68:69], v[68:69], v[74:75]
	v_add_f64 v[70:71], v[70:71], v[79:80]
	v_add_f64 v[66:67], v[66:67], v[77:78]
	v_mul_f64 v[77:78], v[42:43], s[52:53]
	v_fma_f64 v[74:75], v[54:55], s[20:21], v[72:73]
	v_fma_f64 v[72:73], v[54:55], s[20:21], -v[72:73]
	v_fma_f64 v[79:80], v[52:53], s[22:23], -v[77:78]
	v_fma_f64 v[77:78], v[52:53], s[22:23], v[77:78]
	v_add_f64 v[72:73], v[72:73], v[81:82]
	v_mul_f64 v[81:82], v[40:41], s[52:53]
	v_add_f64 v[74:75], v[74:75], v[83:84]
	;; [unrolled: 10-line block ×4, first 2 shown]
	v_add_f64 v[96:97], v[96:97], v[112:113]
	v_add_f64 v[93:94], v[93:94], v[110:111]
	v_mul_f64 v[110:111], v[42:43], s[46:47]
	v_fma_f64 v[108:109], v[54:55], s[2:3], v[98:99]
	v_fma_f64 v[98:99], v[54:55], s[2:3], -v[98:99]
	v_mul_f64 v[42:43], v[42:43], s[36:37]
	v_fma_f64 v[112:113], v[52:53], s[16:17], -v[110:111]
	v_fma_f64 v[110:111], v[52:53], s[16:17], v[110:111]
	v_add_f64 v[98:99], v[98:99], v[114:115]
	v_mul_f64 v[114:115], v[40:41], s[46:47]
	v_mul_f64 v[40:41], v[40:41], s[36:37]
	v_add_f64 v[108:109], v[108:109], v[124:125]
	v_add_f64 v[112:113], v[112:113], v[136:137]
	;; [unrolled: 1-line block ×3, first 2 shown]
	v_fma_f64 v[126:127], v[52:53], s[12:13], -v[42:43]
	v_fma_f64 v[42:43], v[52:53], s[12:13], v[42:43]
	v_fma_f64 v[136:137], v[54:55], s[12:13], v[40:41]
	v_fma_f64 v[40:41], v[54:55], s[12:13], -v[40:41]
	v_fma_f64 v[124:125], v[54:55], s[16:17], v[114:115]
	v_fma_f64 v[114:115], v[54:55], s[16:17], -v[114:115]
	v_add_f64 v[126:127], v[126:127], v[150:151]
	v_add_f64 v[42:43], v[42:43], v[50:51]
	;; [unrolled: 1-line block ×3, first 2 shown]
	v_add_f64 v[34:35], v[34:35], -v[38:39]
	v_add_f64 v[40:41], v[40:41], v[48:49]
	v_add_f64 v[48:49], v[32:33], v[36:37]
	v_add_f64 v[32:33], v[32:33], -v[36:37]
	v_add_f64 v[114:115], v[114:115], v[138:139]
	v_add_f64 v[136:137], v[136:137], v[188:189]
	;; [unrolled: 1-line block ×4, first 2 shown]
	v_add_f64 v[14:15], v[10:11], -v[14:15]
	v_add_f64 v[138:139], v[8:9], v[12:13]
	v_add_f64 v[12:13], v[8:9], -v[12:13]
	v_mul_f64 v[36:37], v[34:35], s[46:47]
	v_mul_f64 v[8:9], v[14:15], s[36:37]
	v_fma_f64 v[38:39], v[48:49], s[16:17], -v[36:37]
	v_fma_f64 v[36:37], v[48:49], s[16:17], v[36:37]
	v_fma_f64 v[10:11], v[138:139], s[12:13], -v[8:9]
	v_fma_f64 v[8:9], v[138:139], s[12:13], v[8:9]
	v_add_f64 v[38:39], v[38:39], v[46:47]
	v_mul_f64 v[46:47], v[32:33], s[46:47]
	v_add_f64 v[36:37], v[36:37], v[44:45]
	v_fma_f64 v[52:53], v[50:51], s[16:17], v[46:47]
	v_fma_f64 v[44:45], v[50:51], s[16:17], -v[46:47]
	v_mul_f64 v[46:47], v[34:35], s[42:43]
	v_add_f64 v[52:53], v[52:53], v[60:61]
	v_add_f64 v[44:45], v[44:45], v[56:57]
	v_fma_f64 v[54:55], v[48:49], s[20:21], -v[46:47]
	v_fma_f64 v[46:47], v[48:49], s[20:21], v[46:47]
	v_mul_f64 v[56:57], v[32:33], s[42:43]
	v_add_f64 v[54:55], v[54:55], v[62:63]
	v_add_f64 v[46:47], v[46:47], v[58:59]
	v_mul_f64 v[58:59], v[34:35], s[52:53]
	v_fma_f64 v[60:61], v[50:51], s[20:21], v[56:57]
	v_fma_f64 v[56:57], v[50:51], s[20:21], -v[56:57]
	v_fma_f64 v[62:63], v[48:49], s[22:23], -v[58:59]
	v_fma_f64 v[58:59], v[48:49], s[22:23], v[58:59]
	v_add_f64 v[56:57], v[56:57], v[64:65]
	v_mul_f64 v[64:65], v[32:33], s[52:53]
	v_add_f64 v[60:61], v[60:61], v[68:69]
	v_add_f64 v[62:63], v[62:63], v[70:71]
	v_add_f64 v[58:59], v[58:59], v[66:67]
	v_mul_f64 v[66:67], v[34:35], s[40:41]
	v_fma_f64 v[68:69], v[50:51], s[22:23], v[64:65]
	v_fma_f64 v[64:65], v[50:51], s[22:23], -v[64:65]
	v_fma_f64 v[70:71], v[48:49], s[2:3], -v[66:67]
	v_fma_f64 v[66:67], v[48:49], s[2:3], v[66:67]
	v_add_f64 v[64:65], v[64:65], v[72:73]
	v_mul_f64 v[72:73], v[32:33], s[40:41]
	v_add_f64 v[68:69], v[68:69], v[74:75]
	;; [unrolled: 10-line block ×4, first 2 shown]
	v_add_f64 v[87:88], v[87:88], v[96:97]
	v_add_f64 v[85:86], v[85:86], v[93:94]
	v_mul_f64 v[93:94], v[34:35], s[50:51]
	v_fma_f64 v[91:92], v[50:51], s[12:13], v[89:90]
	v_fma_f64 v[89:90], v[50:51], s[12:13], -v[89:90]
	v_mul_f64 v[34:35], v[34:35], s[38:39]
	v_fma_f64 v[96:97], v[48:49], s[24:25], -v[93:94]
	v_fma_f64 v[93:94], v[48:49], s[24:25], v[93:94]
	v_add_f64 v[89:90], v[89:90], v[98:99]
	v_mul_f64 v[98:99], v[32:33], s[50:51]
	v_mul_f64 v[32:33], v[32:33], s[38:39]
	v_add_f64 v[91:92], v[91:92], v[108:109]
	v_add_f64 v[96:97], v[96:97], v[112:113]
	;; [unrolled: 1-line block ×3, first 2 shown]
	v_fma_f64 v[110:111], v[48:49], s[18:19], -v[34:35]
	v_fma_f64 v[34:35], v[48:49], s[18:19], v[34:35]
	v_fma_f64 v[112:113], v[50:51], s[18:19], v[32:33]
	v_fma_f64 v[32:33], v[50:51], s[18:19], -v[32:33]
	v_fma_f64 v[108:109], v[50:51], s[24:25], v[98:99]
	v_fma_f64 v[98:99], v[50:51], s[24:25], -v[98:99]
	v_add_f64 v[110:111], v[110:111], v[126:127]
	v_add_f64 v[34:35], v[34:35], v[42:43]
	;; [unrolled: 1-line block ×3, first 2 shown]
	v_add_f64 v[26:27], v[26:27], -v[30:31]
	v_add_f64 v[32:33], v[32:33], v[40:41]
	v_add_f64 v[40:41], v[24:25], v[28:29]
	v_add_f64 v[24:25], v[24:25], -v[28:29]
	v_add_f64 v[98:99], v[98:99], v[114:115]
	v_add_f64 v[112:113], v[112:113], v[136:137]
	;; [unrolled: 1-line block ×3, first 2 shown]
	v_mul_f64 v[28:29], v[26:27], s[26:27]
	v_mul_f64 v[50:51], v[24:25], s[56:57]
	v_fma_f64 v[30:31], v[40:41], s[22:23], -v[28:29]
	v_fma_f64 v[28:29], v[40:41], s[22:23], v[28:29]
	v_add_f64 v[30:31], v[30:31], v[38:39]
	v_mul_f64 v[38:39], v[24:25], s[26:27]
	v_add_f64 v[28:29], v[28:29], v[36:37]
	v_fma_f64 v[48:49], v[42:43], s[22:23], v[38:39]
	v_fma_f64 v[36:37], v[42:43], s[22:23], -v[38:39]
	v_mul_f64 v[38:39], v[26:27], s[56:57]
	v_add_f64 v[48:49], v[48:49], v[52:53]
	v_add_f64 v[36:37], v[36:37], v[44:45]
	v_fma_f64 v[44:45], v[40:41], s[12:13], -v[38:39]
	v_fma_f64 v[38:39], v[40:41], s[12:13], v[38:39]
	v_fma_f64 v[52:53], v[42:43], s[12:13], v[50:51]
	v_add_f64 v[44:45], v[44:45], v[54:55]
	v_add_f64 v[38:39], v[38:39], v[46:47]
	v_fma_f64 v[46:47], v[42:43], s[12:13], -v[50:51]
	v_mul_f64 v[50:51], v[26:27], s[38:39]
	v_add_f64 v[52:53], v[52:53], v[60:61]
	v_add_f64 v[46:47], v[46:47], v[56:57]
	v_fma_f64 v[54:55], v[40:41], s[18:19], -v[50:51]
	v_fma_f64 v[50:51], v[40:41], s[18:19], v[50:51]
	v_mul_f64 v[56:57], v[24:25], s[38:39]
	v_add_f64 v[54:55], v[54:55], v[62:63]
	v_add_f64 v[50:51], v[50:51], v[58:59]
	v_mul_f64 v[58:59], v[26:27], s[54:55]
	v_fma_f64 v[60:61], v[42:43], s[18:19], v[56:57]
	v_fma_f64 v[56:57], v[42:43], s[18:19], -v[56:57]
	v_fma_f64 v[62:63], v[40:41], s[4:5], -v[58:59]
	v_fma_f64 v[58:59], v[40:41], s[4:5], v[58:59]
	v_add_f64 v[56:57], v[56:57], v[64:65]
	v_mul_f64 v[64:65], v[24:25], s[54:55]
	v_add_f64 v[60:61], v[60:61], v[68:69]
	v_add_f64 v[62:63], v[62:63], v[70:71]
	v_add_f64 v[58:59], v[58:59], v[66:67]
	v_mul_f64 v[66:67], v[26:27], s[42:43]
	v_fma_f64 v[68:69], v[42:43], s[4:5], v[64:65]
	v_fma_f64 v[64:65], v[42:43], s[4:5], -v[64:65]
	v_fma_f64 v[70:71], v[40:41], s[20:21], -v[66:67]
	v_fma_f64 v[66:67], v[40:41], s[20:21], v[66:67]
	v_add_f64 v[64:65], v[64:65], v[72:73]
	v_mul_f64 v[72:73], v[24:25], s[42:43]
	v_add_f64 v[68:69], v[68:69], v[74:75]
	;; [unrolled: 10-line block ×3, first 2 shown]
	v_add_f64 v[79:80], v[79:80], v[87:88]
	v_add_f64 v[77:78], v[77:78], v[85:86]
	v_mul_f64 v[85:86], v[26:27], s[44:45]
	v_fma_f64 v[83:84], v[42:43], s[16:17], v[81:82]
	v_fma_f64 v[81:82], v[42:43], s[16:17], -v[81:82]
	v_mul_f64 v[26:27], v[26:27], s[34:35]
	v_fma_f64 v[87:88], v[40:41], s[2:3], -v[85:86]
	v_fma_f64 v[85:86], v[40:41], s[2:3], v[85:86]
	v_add_f64 v[81:82], v[81:82], v[89:90]
	v_mul_f64 v[89:90], v[24:25], s[44:45]
	v_mul_f64 v[24:25], v[24:25], s[34:35]
	v_add_f64 v[83:84], v[83:84], v[91:92]
	v_add_f64 v[87:88], v[87:88], v[96:97]
	;; [unrolled: 1-line block ×3, first 2 shown]
	v_fma_f64 v[93:94], v[40:41], s[24:25], -v[26:27]
	v_fma_f64 v[26:27], v[40:41], s[24:25], v[26:27]
	v_fma_f64 v[96:97], v[42:43], s[24:25], v[24:25]
	v_fma_f64 v[24:25], v[42:43], s[24:25], -v[24:25]
	v_fma_f64 v[91:92], v[42:43], s[2:3], v[89:90]
	v_fma_f64 v[89:90], v[42:43], s[2:3], -v[89:90]
	v_add_f64 v[93:94], v[93:94], v[110:111]
	v_add_f64 v[26:27], v[26:27], v[34:35]
	;; [unrolled: 1-line block ×3, first 2 shown]
	v_add_f64 v[18:19], v[18:19], -v[22:23]
	v_add_f64 v[24:25], v[24:25], v[32:33]
	v_add_f64 v[32:33], v[16:17], v[20:21]
	v_add_f64 v[16:17], v[16:17], -v[20:21]
	v_add_f64 v[89:90], v[89:90], v[98:99]
	v_add_f64 v[96:97], v[96:97], v[112:113]
	;; [unrolled: 1-line block ×3, first 2 shown]
	v_mul_f64 v[20:21], v[18:19], s[34:35]
	v_mul_f64 v[42:43], v[16:17], s[52:53]
	v_fma_f64 v[22:23], v[32:33], s[24:25], -v[20:21]
	v_fma_f64 v[20:21], v[32:33], s[24:25], v[20:21]
	v_add_f64 v[22:23], v[22:23], v[30:31]
	v_mul_f64 v[30:31], v[16:17], s[34:35]
	v_add_f64 v[20:21], v[20:21], v[28:29]
	v_fma_f64 v[40:41], v[34:35], s[24:25], v[30:31]
	v_fma_f64 v[28:29], v[34:35], s[24:25], -v[30:31]
	v_mul_f64 v[30:31], v[18:19], s[52:53]
	v_add_f64 v[40:41], v[40:41], v[48:49]
	v_add_f64 v[28:29], v[28:29], v[36:37]
	v_fma_f64 v[36:37], v[32:33], s[22:23], -v[30:31]
	v_fma_f64 v[30:31], v[32:33], s[22:23], v[30:31]
	v_mul_f64 v[48:49], v[16:17], s[44:45]
	v_add_f64 v[36:37], v[36:37], v[44:45]
	v_fma_f64 v[44:45], v[34:35], s[22:23], v[42:43]
	v_add_f64 v[30:31], v[30:31], v[38:39]
	v_fma_f64 v[38:39], v[34:35], s[22:23], -v[42:43]
	v_mul_f64 v[42:43], v[18:19], s[44:45]
	v_add_f64 v[44:45], v[44:45], v[52:53]
	v_fma_f64 v[52:53], v[34:35], s[2:3], v[48:49]
	v_add_f64 v[38:39], v[38:39], v[46:47]
	v_fma_f64 v[46:47], v[32:33], s[2:3], -v[42:43]
	v_fma_f64 v[42:43], v[32:33], s[2:3], v[42:43]
	v_fma_f64 v[48:49], v[34:35], s[2:3], -v[48:49]
	v_add_f64 v[46:47], v[46:47], v[54:55]
	v_add_f64 v[42:43], v[42:43], v[50:51]
	v_mul_f64 v[50:51], v[18:19], s[36:37]
	v_add_f64 v[54:55], v[52:53], v[60:61]
	v_add_f64 v[48:49], v[48:49], v[56:57]
	v_fma_f64 v[52:53], v[32:33], s[12:13], -v[50:51]
	v_fma_f64 v[50:51], v[32:33], s[12:13], v[50:51]
	v_add_f64 v[98:99], v[52:53], v[62:63]
	v_mul_f64 v[52:53], v[16:17], s[36:37]
	v_add_f64 v[110:111], v[50:51], v[58:59]
	v_fma_f64 v[50:51], v[34:35], s[12:13], -v[52:53]
	v_fma_f64 v[56:57], v[34:35], s[12:13], v[52:53]
	v_add_f64 v[112:113], v[50:51], v[64:65]
	v_mul_f64 v[50:51], v[18:19], s[28:29]
	v_add_f64 v[108:109], v[56:57], v[68:69]
	v_add_f64 v[68:69], v[10:11], v[22:23]
	v_mul_f64 v[10:11], v[12:13], s[36:37]
	v_fma_f64 v[52:53], v[32:33], s[16:17], -v[50:51]
	v_fma_f64 v[50:51], v[32:33], s[16:17], v[50:51]
	v_add_f64 v[114:115], v[52:53], v[70:71]
	v_mul_f64 v[52:53], v[16:17], s[28:29]
	v_add_f64 v[124:125], v[50:51], v[66:67]
	v_add_f64 v[66:67], v[8:9], v[20:21]
	v_fma_f64 v[8:9], v[148:149], s[12:13], -v[10:11]
	v_fma_f64 v[50:51], v[34:35], s[16:17], -v[52:53]
	v_fma_f64 v[56:57], v[34:35], s[16:17], v[52:53]
	v_add_f64 v[64:65], v[8:9], v[28:29]
	v_mul_f64 v[8:9], v[14:15], s[30:31]
	v_add_f64 v[72:73], v[50:51], v[72:73]
	v_mul_f64 v[50:51], v[18:19], s[48:49]
	v_add_f64 v[74:75], v[56:57], v[74:75]
	v_fma_f64 v[52:53], v[32:33], s[18:19], -v[50:51]
	v_fma_f64 v[50:51], v[32:33], s[18:19], v[50:51]
	v_add_f64 v[79:80], v[52:53], v[79:80]
	v_mul_f64 v[52:53], v[16:17], s[48:49]
	v_add_f64 v[77:78], v[50:51], v[77:78]
	v_fma_f64 v[50:51], v[34:35], s[18:19], -v[52:53]
	v_fma_f64 v[56:57], v[34:35], s[18:19], v[52:53]
	v_add_f64 v[81:82], v[50:51], v[81:82]
	v_mul_f64 v[50:51], v[18:19], s[42:43]
	v_mul_f64 v[18:19], v[18:19], s[30:31]
	v_add_f64 v[83:84], v[56:57], v[83:84]
	v_fma_f64 v[52:53], v[32:33], s[20:21], -v[50:51]
	v_fma_f64 v[50:51], v[32:33], s[20:21], v[50:51]
	v_add_f64 v[87:88], v[52:53], v[87:88]
	v_mul_f64 v[52:53], v[16:17], s[42:43]
	v_add_f64 v[85:86], v[50:51], v[85:86]
	v_mul_f64 v[16:17], v[16:17], s[30:31]
	v_fma_f64 v[50:51], v[34:35], s[20:21], -v[52:53]
	v_fma_f64 v[56:57], v[34:35], s[20:21], v[52:53]
	v_add_f64 v[89:90], v[50:51], v[89:90]
	v_fma_f64 v[50:51], v[32:33], s[4:5], -v[18:19]
	v_add_f64 v[91:92], v[56:57], v[91:92]
	v_fma_f64 v[18:19], v[32:33], s[4:5], v[18:19]
	v_add_f64 v[93:94], v[50:51], v[93:94]
	v_fma_f64 v[50:51], v[34:35], s[4:5], v[16:17]
	v_fma_f64 v[16:17], v[34:35], s[4:5], -v[16:17]
	v_add_f64 v[126:127], v[18:19], v[26:27]
	v_add_f64 v[96:97], v[50:51], v[96:97]
	;; [unrolled: 1-line block ×3, first 2 shown]
	v_fma_f64 v[16:17], v[148:149], s[12:13], v[10:11]
	v_fma_f64 v[10:11], v[138:139], s[4:5], -v[8:9]
	v_fma_f64 v[8:9], v[138:139], s[4:5], v[8:9]
	v_add_f64 v[70:71], v[16:17], v[40:41]
	v_add_f64 v[60:61], v[10:11], v[36:37]
	v_mul_f64 v[10:11], v[12:13], s[30:31]
	v_add_f64 v[58:59], v[8:9], v[30:31]
	v_fma_f64 v[8:9], v[148:149], s[4:5], -v[10:11]
	v_fma_f64 v[16:17], v[148:149], s[4:5], v[10:11]
	v_add_f64 v[56:57], v[8:9], v[38:39]
	v_mul_f64 v[8:9], v[14:15], s[46:47]
	v_add_f64 v[62:63], v[16:17], v[44:45]
	v_fma_f64 v[10:11], v[138:139], s[16:17], -v[8:9]
	v_fma_f64 v[8:9], v[138:139], s[16:17], v[8:9]
	;; [unrolled: 5-line block ×4, first 2 shown]
	v_add_f64 v[44:45], v[10:11], v[98:99]
	v_mul_f64 v[10:11], v[12:13], s[50:51]
	v_add_f64 v[42:43], v[8:9], v[110:111]
	v_add_f64 v[110:111], v[186:187], -v[142:143]
	v_fma_f64 v[8:9], v[148:149], s[24:25], -v[10:11]
	v_fma_f64 v[16:17], v[148:149], s[24:25], v[10:11]
	v_add_f64 v[40:41], v[8:9], v[112:113]
	v_mul_f64 v[8:9], v[14:15], s[44:45]
	v_add_f64 v[46:47], v[16:17], v[108:109]
	v_fma_f64 v[10:11], v[138:139], s[2:3], -v[8:9]
	v_fma_f64 v[8:9], v[138:139], s[2:3], v[8:9]
	v_add_f64 v[36:37], v[10:11], v[114:115]
	v_mul_f64 v[10:11], v[12:13], s[44:45]
	v_add_f64 v[8:9], v[8:9], v[124:125]
	v_fma_f64 v[16:17], v[148:149], s[2:3], v[10:11]
	v_fma_f64 v[10:11], v[148:149], s[2:3], -v[10:11]
	v_add_f64 v[38:39], v[16:17], v[74:75]
	v_mul_f64 v[16:17], v[14:15], s[42:43]
	v_add_f64 v[10:11], v[10:11], v[72:73]
	v_add_f64 v[74:75], v[158:159], -v[102:103]
	v_add_f64 v[72:73], v[156:157], -v[100:101]
	v_fma_f64 v[18:19], v[138:139], s[20:21], -v[16:17]
	v_fma_f64 v[16:17], v[138:139], s[20:21], v[16:17]
	v_add_f64 v[32:33], v[18:19], v[79:80]
	v_mul_f64 v[18:19], v[12:13], s[42:43]
	v_add_f64 v[30:31], v[16:17], v[77:78]
	v_add_f64 v[79:80], v[0:1], v[4:5]
	;; [unrolled: 1-line block ×3, first 2 shown]
	v_fma_f64 v[20:21], v[148:149], s[20:21], v[18:19]
	v_fma_f64 v[16:17], v[148:149], s[20:21], -v[18:19]
	v_add_f64 v[34:35], v[20:21], v[83:84]
	v_add_f64 v[83:84], v[2:3], -v[6:7]
	v_add_f64 v[28:29], v[16:17], v[81:82]
	v_add_f64 v[81:82], v[0:1], -v[4:5]
	v_mul_f64 v[16:17], v[14:15], s[38:39]
	v_mul_f64 v[14:15], v[14:15], s[26:27]
	;; [unrolled: 1-line block ×3, first 2 shown]
	v_fma_f64 v[18:19], v[138:139], s[18:19], -v[16:17]
	v_fma_f64 v[16:17], v[138:139], s[18:19], v[16:17]
	v_fma_f64 v[2:3], v[79:80], s[20:21], -v[0:1]
	v_fma_f64 v[0:1], v[79:80], s[20:21], v[0:1]
	v_add_f64 v[24:25], v[18:19], v[87:88]
	v_mul_f64 v[18:19], v[12:13], s[38:39]
	v_add_f64 v[22:23], v[16:17], v[85:86]
	v_mul_f64 v[12:13], v[12:13], s[26:27]
	;; [unrolled: 2-line block ×3, first 2 shown]
	v_fma_f64 v[20:21], v[148:149], s[18:19], v[18:19]
	v_fma_f64 v[16:17], v[148:149], s[18:19], -v[18:19]
	v_fma_f64 v[4:5], v[77:78], s[20:21], v[2:3]
	v_add_f64 v[26:27], v[20:21], v[91:92]
	v_add_f64 v[20:21], v[16:17], v[89:90]
	v_fma_f64 v[16:17], v[138:139], s[22:23], -v[14:15]
	v_fma_f64 v[14:15], v[138:139], s[22:23], v[14:15]
	v_add_f64 v[70:71], v[4:5], v[70:71]
	v_add_f64 v[4:5], v[0:1], v[66:67]
	v_fma_f64 v[0:1], v[77:78], s[20:21], -v[2:3]
	buffer_store_dword v68, off, s[60:63], 0 offset:560 ; 4-byte Folded Spill
	buffer_store_dword v69, off, s[60:63], 0 offset:564 ; 4-byte Folded Spill
	;; [unrolled: 1-line block ×4, first 2 shown]
	v_add_f64 v[18:19], v[16:17], v[93:94]
	v_add_f64 v[6:7], v[0:1], v[64:65]
	v_mul_f64 v[0:1], v[83:84], s[40:41]
	buffer_store_dword v4, off, s[60:63], 0 offset:544 ; 4-byte Folded Spill
	buffer_store_dword v5, off, s[60:63], 0 offset:548 ; 4-byte Folded Spill
	;; [unrolled: 1-line block ×4, first 2 shown]
	v_fma_f64 v[2:3], v[79:80], s[2:3], -v[0:1]
	v_fma_f64 v[0:1], v[79:80], s[2:3], v[0:1]
	v_fma_f64 v[16:17], v[148:149], s[22:23], v[12:13]
	v_add_f64 v[14:15], v[14:15], v[126:127]
	v_fma_f64 v[12:13], v[148:149], s[22:23], -v[12:13]
	v_add_f64 v[60:61], v[2:3], v[60:61]
	v_mul_f64 v[2:3], v[81:82], s[40:41]
	v_add_f64 v[16:17], v[16:17], v[96:97]
	v_add_f64 v[12:13], v[12:13], v[136:137]
	v_fma_f64 v[4:5], v[77:78], s[2:3], v[2:3]
	v_add_f64 v[62:63], v[4:5], v[62:63]
	v_add_f64 v[4:5], v[0:1], v[58:59]
	v_fma_f64 v[0:1], v[77:78], s[2:3], -v[2:3]
	buffer_store_dword v60, off, s[60:63], 0 offset:592 ; 4-byte Folded Spill
	buffer_store_dword v61, off, s[60:63], 0 offset:596 ; 4-byte Folded Spill
	;; [unrolled: 1-line block ×4, first 2 shown]
	v_add_f64 v[6:7], v[0:1], v[56:57]
	v_mul_f64 v[0:1], v[83:84], s[36:37]
	buffer_store_dword v4, off, s[60:63], 0 offset:576 ; 4-byte Folded Spill
	buffer_store_dword v5, off, s[60:63], 0 offset:580 ; 4-byte Folded Spill
	;; [unrolled: 1-line block ×4, first 2 shown]
	v_fma_f64 v[2:3], v[79:80], s[12:13], -v[0:1]
	v_fma_f64 v[0:1], v[79:80], s[12:13], v[0:1]
	v_mul_f64 v[6:7], v[81:82], s[38:39]
	v_add_f64 v[212:213], v[2:3], v[52:53]
	v_mul_f64 v[2:3], v[81:82], s[36:37]
	v_add_f64 v[208:209], v[0:1], v[50:51]
	v_fma_f64 v[4:5], v[77:78], s[12:13], v[2:3]
	v_fma_f64 v[0:1], v[77:78], s[12:13], -v[2:3]
	v_fma_f64 v[2:3], v[77:78], s[18:19], v[6:7]
	v_add_f64 v[214:215], v[4:5], v[54:55]
	v_mul_f64 v[4:5], v[83:84], s[38:39]
	v_add_f64 v[210:211], v[0:1], v[48:49]
	v_add_f64 v[2:3], v[2:3], v[46:47]
	v_fma_f64 v[0:1], v[79:80], s[18:19], -v[4:5]
	v_fma_f64 v[4:5], v[79:80], s[18:19], v[4:5]
	v_add_f64 v[0:1], v[0:1], v[44:45]
	v_add_f64 v[216:217], v[4:5], v[42:43]
	v_fma_f64 v[4:5], v[77:78], s[18:19], -v[6:7]
	v_add_f64 v[218:219], v[4:5], v[40:41]
	v_mul_f64 v[40:41], v[83:84], s[34:35]
	v_fma_f64 v[4:5], v[79:80], s[24:25], -v[40:41]
	v_add_f64 v[4:5], v[4:5], v[36:37]
	v_mul_f64 v[36:37], v[81:82], s[34:35]
	v_fma_f64 v[6:7], v[77:78], s[24:25], v[36:37]
	v_fma_f64 v[36:37], v[77:78], s[24:25], -v[36:37]
	v_add_f64 v[6:7], v[6:7], v[38:39]
	v_fma_f64 v[38:39], v[79:80], s[24:25], v[40:41]
	v_add_f64 v[10:11], v[36:37], v[10:11]
	v_mul_f64 v[36:37], v[83:84], s[30:31]
	v_add_f64 v[8:9], v[38:39], v[8:9]
	v_fma_f64 v[38:39], v[79:80], s[4:5], -v[36:37]
	v_add_f64 v[220:221], v[38:39], v[32:33]
	v_mul_f64 v[32:33], v[81:82], s[30:31]
	v_fma_f64 v[38:39], v[77:78], s[4:5], v[32:33]
	v_add_f64 v[222:223], v[38:39], v[34:35]
	v_fma_f64 v[34:35], v[79:80], s[4:5], v[36:37]
	v_add_f64 v[224:225], v[34:35], v[30:31]
	v_fma_f64 v[30:31], v[77:78], s[4:5], -v[32:33]
	v_add_f64 v[226:227], v[30:31], v[28:29]
	v_mul_f64 v[28:29], v[83:84], s[26:27]
	v_fma_f64 v[30:31], v[79:80], s[22:23], -v[28:29]
	v_add_f64 v[228:229], v[30:31], v[24:25]
	v_mul_f64 v[24:25], v[81:82], s[26:27]
	v_fma_f64 v[30:31], v[77:78], s[22:23], v[24:25]
	v_add_f64 v[230:231], v[30:31], v[26:27]
	v_fma_f64 v[26:27], v[79:80], s[22:23], v[28:29]
	v_add_f64 v[232:233], v[26:27], v[22:23]
	v_fma_f64 v[22:23], v[77:78], s[22:23], -v[24:25]
	v_add_f64 v[234:235], v[22:23], v[20:21]
	v_mul_f64 v[20:21], v[83:84], s[28:29]
	v_fma_f64 v[22:23], v[79:80], s[16:17], -v[20:21]
	v_add_f64 v[236:237], v[22:23], v[18:19]
	v_mul_f64 v[18:19], v[81:82], s[28:29]
	v_fma_f64 v[22:23], v[77:78], s[16:17], v[18:19]
	v_add_f64 v[238:239], v[22:23], v[16:17]
	v_fma_f64 v[16:17], v[79:80], s[16:17], v[20:21]
	v_mul_f64 v[79:80], v[72:73], s[48:49]
	v_add_f64 v[240:241], v[16:17], v[14:15]
	v_fma_f64 v[14:15], v[77:78], s[16:17], -v[18:19]
	v_add_f64 v[16:17], v[152:153], -v[104:105]
	v_add_f64 v[18:19], v[154:155], -v[106:107]
	v_mul_f64 v[77:78], v[74:75], s[48:49]
	v_add_f64 v[242:243], v[14:15], v[12:13]
	v_mul_f64 v[22:23], v[16:17], s[44:45]
	v_mul_f64 v[20:21], v[18:19], s[44:45]
	;; [unrolled: 1-line block ×3, first 2 shown]
	buffer_store_dword v20, off, s[60:63], 0 offset:608 ; 4-byte Folded Spill
	buffer_store_dword v21, off, s[60:63], 0 offset:612 ; 4-byte Folded Spill
	buffer_store_dword v22, off, s[60:63], 0 offset:624 ; 4-byte Folded Spill
	buffer_store_dword v23, off, s[60:63], 0 offset:628 ; 4-byte Folded Spill
	v_mul_f64 v[26:27], v[16:17], s[48:49]
	buffer_store_dword v24, off, s[60:63], 0 offset:640 ; 4-byte Folded Spill
	buffer_store_dword v25, off, s[60:63], 0 offset:644 ; 4-byte Folded Spill
	;; [unrolled: 1-line block ×4, first 2 shown]
	v_add_f64 v[12:13], v[152:153], v[104:105]
	v_add_f64 v[14:15], v[154:155], v[106:107]
	v_fma_f64 v[20:21], v[12:13], s[2:3], v[20:21]
	v_fma_f64 v[22:23], v[14:15], s[2:3], -v[22:23]
	v_fma_f64 v[24:25], v[12:13], s[18:19], v[24:25]
	v_add_f64 v[20:21], v[120:121], v[20:21]
	v_add_f64 v[22:23], v[122:123], v[22:23]
	;; [unrolled: 1-line block ×3, first 2 shown]
	v_fma_f64 v[24:25], v[14:15], s[18:19], -v[26:27]
	v_mul_f64 v[26:27], v[16:17], s[54:55]
	v_add_f64 v[30:31], v[122:123], v[24:25]
	v_mul_f64 v[24:25], v[18:19], s[54:55]
	buffer_store_dword v24, off, s[60:63], 0 offset:656 ; 4-byte Folded Spill
	buffer_store_dword v25, off, s[60:63], 0 offset:660 ; 4-byte Folded Spill
	;; [unrolled: 1-line block ×8, first 2 shown]
	v_fma_f64 v[24:25], v[12:13], s[4:5], v[24:25]
	v_add_f64 v[32:33], v[120:121], v[24:25]
	v_fma_f64 v[24:25], v[14:15], s[4:5], -v[26:27]
	v_add_f64 v[34:35], v[122:123], v[24:25]
	v_mul_f64 v[24:25], v[18:19], s[46:47]
	v_fma_f64 v[26:27], v[12:13], s[16:17], -v[24:25]
	v_fma_f64 v[24:25], v[12:13], s[16:17], v[24:25]
	v_add_f64 v[36:37], v[120:121], v[26:27]
	v_mul_f64 v[26:27], v[16:17], s[46:47]
	v_add_f64 v[40:41], v[120:121], v[24:25]
	v_fma_f64 v[24:25], v[14:15], s[16:17], -v[26:27]
	v_fma_f64 v[38:39], v[14:15], s[16:17], v[26:27]
	v_add_f64 v[42:43], v[122:123], v[24:25]
	v_mul_f64 v[24:25], v[18:19], s[26:27]
	v_add_f64 v[38:39], v[122:123], v[38:39]
	;; [unrolled: 5-line block ×5, first 2 shown]
	v_fma_f64 v[24:25], v[14:15], s[24:25], -v[26:27]
	v_fma_f64 v[54:55], v[14:15], s[24:25], v[26:27]
	v_add_f64 v[58:59], v[122:123], v[24:25]
	v_mul_f64 v[24:25], v[18:19], s[36:37]
	v_mul_f64 v[18:19], v[18:19], s[42:43]
	v_add_f64 v[54:55], v[122:123], v[54:55]
	v_fma_f64 v[26:27], v[12:13], s[12:13], -v[24:25]
	v_fma_f64 v[24:25], v[12:13], s[12:13], v[24:25]
	v_add_f64 v[60:61], v[120:121], v[26:27]
	v_mul_f64 v[26:27], v[16:17], s[36:37]
	v_add_f64 v[64:65], v[120:121], v[24:25]
	v_mul_f64 v[16:17], v[16:17], s[42:43]
	v_fma_f64 v[24:25], v[14:15], s[12:13], -v[26:27]
	v_fma_f64 v[62:63], v[14:15], s[12:13], v[26:27]
	v_add_f64 v[26:27], v[158:159], v[102:103]
	v_add_f64 v[66:67], v[122:123], v[24:25]
	v_fma_f64 v[24:25], v[12:13], s[20:21], -v[18:19]
	v_add_f64 v[62:63], v[122:123], v[62:63]
	v_fma_f64 v[18:19], v[12:13], s[20:21], v[18:19]
	v_add_f64 v[68:69], v[120:121], v[24:25]
	v_fma_f64 v[24:25], v[14:15], s[20:21], v[16:17]
	v_add_f64 v[18:19], v[120:121], v[18:19]
	v_fma_f64 v[16:17], v[14:15], s[20:21], -v[16:17]
	v_add_f64 v[70:71], v[122:123], v[24:25]
	v_add_f64 v[24:25], v[156:157], v[100:101]
	;; [unrolled: 1-line block ×3, first 2 shown]
	v_fma_f64 v[77:78], v[24:25], s[18:19], v[77:78]
	v_add_f64 v[20:21], v[77:78], v[20:21]
	v_fma_f64 v[77:78], v[26:27], s[18:19], -v[79:80]
	v_mul_f64 v[79:80], v[72:73], s[46:47]
	v_add_f64 v[22:23], v[77:78], v[22:23]
	v_mul_f64 v[77:78], v[74:75], s[46:47]
	buffer_store_dword v77, off, s[60:63], 0 offset:712 ; 4-byte Folded Spill
	buffer_store_dword v78, off, s[60:63], 0 offset:716 ; 4-byte Folded Spill
	;; [unrolled: 1-line block ×4, first 2 shown]
	v_fma_f64 v[77:78], v[24:25], s[16:17], v[77:78]
	v_add_f64 v[28:29], v[77:78], v[28:29]
	v_fma_f64 v[77:78], v[26:27], s[16:17], -v[79:80]
	v_mul_f64 v[79:80], v[72:73], s[34:35]
	v_add_f64 v[30:31], v[77:78], v[30:31]
	v_mul_f64 v[77:78], v[74:75], s[34:35]
	buffer_store_dword v77, off, s[60:63], 0 offset:728 ; 4-byte Folded Spill
	buffer_store_dword v78, off, s[60:63], 0 offset:732 ; 4-byte Folded Spill
	;; [unrolled: 1-line block ×4, first 2 shown]
	v_fma_f64 v[77:78], v[24:25], s[24:25], v[77:78]
	v_add_f64 v[32:33], v[77:78], v[32:33]
	v_fma_f64 v[77:78], v[26:27], s[24:25], -v[79:80]
	v_add_f64 v[34:35], v[77:78], v[34:35]
	v_mul_f64 v[77:78], v[74:75], s[42:43]
	v_fma_f64 v[79:80], v[24:25], s[20:21], -v[77:78]
	v_fma_f64 v[77:78], v[24:25], s[20:21], v[77:78]
	v_add_f64 v[36:37], v[79:80], v[36:37]
	v_mul_f64 v[79:80], v[72:73], s[42:43]
	v_add_f64 v[40:41], v[77:78], v[40:41]
	v_fma_f64 v[77:78], v[26:27], s[20:21], -v[79:80]
	v_fma_f64 v[81:82], v[26:27], s[20:21], v[79:80]
	v_add_f64 v[42:43], v[77:78], v[42:43]
	v_mul_f64 v[77:78], v[74:75], s[56:57]
	v_add_f64 v[38:39], v[81:82], v[38:39]
	v_fma_f64 v[79:80], v[24:25], s[12:13], -v[77:78]
	v_add_f64 v[79:80], v[79:80], v[44:45]
	v_mul_f64 v[44:45], v[72:73], s[56:57]
	v_fma_f64 v[81:82], v[26:27], s[12:13], v[44:45]
	v_fma_f64 v[44:45], v[26:27], s[12:13], -v[44:45]
	v_add_f64 v[81:82], v[81:82], v[46:47]
	v_fma_f64 v[46:47], v[24:25], s[12:13], v[77:78]
	v_add_f64 v[50:51], v[44:45], v[50:51]
	v_mul_f64 v[44:45], v[74:75], s[52:53]
	v_add_f64 v[48:49], v[46:47], v[48:49]
	v_fma_f64 v[46:47], v[24:25], s[22:23], -v[44:45]
	v_fma_f64 v[44:45], v[24:25], s[22:23], v[44:45]
	v_add_f64 v[52:53], v[46:47], v[52:53]
	v_mul_f64 v[46:47], v[72:73], s[52:53]
	v_add_f64 v[56:57], v[44:45], v[56:57]
	v_fma_f64 v[44:45], v[26:27], s[22:23], -v[46:47]
	;; [unrolled: 5-line block ×4, first 2 shown]
	v_fma_f64 v[77:78], v[26:27], s[4:5], v[46:47]
	v_add_f64 v[66:67], v[44:45], v[66:67]
	v_mul_f64 v[44:45], v[74:75], s[40:41]
	v_add_f64 v[74:75], v[166:167], -v[118:119]
	v_add_f64 v[62:63], v[77:78], v[62:63]
	v_fma_f64 v[46:47], v[24:25], s[2:3], -v[44:45]
	v_mul_f64 v[77:78], v[74:75], s[54:55]
	buffer_store_dword v77, off, s[60:63], 0 offset:744 ; 4-byte Folded Spill
	buffer_store_dword v78, off, s[60:63], 0 offset:748 ; 4-byte Folded Spill
	v_add_f64 v[68:69], v[46:47], v[68:69]
	v_mul_f64 v[46:47], v[72:73], s[40:41]
	v_fma_f64 v[44:45], v[24:25], s[2:3], v[44:45]
	v_fma_f64 v[72:73], v[26:27], s[2:3], v[46:47]
	v_add_f64 v[18:19], v[44:45], v[18:19]
	v_fma_f64 v[44:45], v[26:27], s[2:3], -v[46:47]
	v_add_f64 v[46:47], v[166:167], v[118:119]
	v_add_f64 v[70:71], v[72:73], v[70:71]
	v_add_f64 v[72:73], v[164:165], -v[116:117]
	v_add_f64 v[16:17], v[44:45], v[16:17]
	v_add_f64 v[44:45], v[164:165], v[116:117]
	v_mul_f64 v[83:84], v[72:73], s[54:55]
	buffer_store_dword v83, off, s[60:63], 0 offset:752 ; 4-byte Folded Spill
	buffer_store_dword v84, off, s[60:63], 0 offset:756 ; 4-byte Folded Spill
	v_fma_f64 v[77:78], v[44:45], s[4:5], v[77:78]
	v_add_f64 v[20:21], v[77:78], v[20:21]
	v_fma_f64 v[77:78], v[46:47], s[4:5], -v[83:84]
	v_mul_f64 v[83:84], v[72:73], s[34:35]
	v_add_f64 v[22:23], v[77:78], v[22:23]
	v_mul_f64 v[77:78], v[74:75], s[34:35]
	buffer_store_dword v77, off, s[60:63], 0 offset:760 ; 4-byte Folded Spill
	buffer_store_dword v78, off, s[60:63], 0 offset:764 ; 4-byte Folded Spill
	;; [unrolled: 1-line block ×4, first 2 shown]
	v_fma_f64 v[77:78], v[44:45], s[24:25], v[77:78]
	v_add_f64 v[28:29], v[77:78], v[28:29]
	v_fma_f64 v[77:78], v[46:47], s[24:25], -v[83:84]
	v_mul_f64 v[83:84], v[72:73], s[58:59]
	v_add_f64 v[30:31], v[77:78], v[30:31]
	v_mul_f64 v[77:78], v[74:75], s[58:59]
	buffer_store_dword v77, off, s[60:63], 0 offset:776 ; 4-byte Folded Spill
	buffer_store_dword v78, off, s[60:63], 0 offset:780 ; 4-byte Folded Spill
	;; [unrolled: 1-line block ×4, first 2 shown]
	v_fma_f64 v[77:78], v[44:45], s[20:21], v[77:78]
	v_add_f64 v[32:33], v[77:78], v[32:33]
	v_fma_f64 v[77:78], v[46:47], s[20:21], -v[83:84]
	v_add_f64 v[34:35], v[77:78], v[34:35]
	v_mul_f64 v[77:78], v[74:75], s[52:53]
	v_fma_f64 v[83:84], v[44:45], s[22:23], -v[77:78]
	v_fma_f64 v[77:78], v[44:45], s[22:23], v[77:78]
	v_add_f64 v[36:37], v[83:84], v[36:37]
	v_mul_f64 v[83:84], v[72:73], s[52:53]
	v_add_f64 v[40:41], v[77:78], v[40:41]
	v_fma_f64 v[77:78], v[46:47], s[22:23], -v[83:84]
	v_fma_f64 v[85:86], v[46:47], s[22:23], v[83:84]
	v_add_f64 v[42:43], v[77:78], v[42:43]
	v_mul_f64 v[77:78], v[74:75], s[38:39]
	v_add_f64 v[38:39], v[85:86], v[38:39]
	;; [unrolled: 5-line block ×6, first 2 shown]
	v_fma_f64 v[83:84], v[44:45], s[16:17], -v[77:78]
	v_add_f64 v[83:84], v[83:84], v[60:61]
	v_mul_f64 v[60:61], v[72:73], s[46:47]
	v_fma_f64 v[85:86], v[46:47], s[16:17], v[60:61]
	v_fma_f64 v[60:61], v[46:47], s[16:17], -v[60:61]
	v_add_f64 v[85:86], v[85:86], v[62:63]
	v_fma_f64 v[62:63], v[44:45], s[16:17], v[77:78]
	v_add_f64 v[66:67], v[60:61], v[66:67]
	v_mul_f64 v[60:61], v[74:75], s[36:37]
	v_add_f64 v[74:75], v[170:171], -v[130:131]
	v_add_f64 v[64:65], v[62:63], v[64:65]
	v_fma_f64 v[62:63], v[44:45], s[12:13], -v[60:61]
	v_mul_f64 v[77:78], v[74:75], s[46:47]
	buffer_store_dword v77, off, s[60:63], 0 offset:792 ; 4-byte Folded Spill
	buffer_store_dword v78, off, s[60:63], 0 offset:796 ; 4-byte Folded Spill
	v_add_f64 v[68:69], v[62:63], v[68:69]
	v_mul_f64 v[62:63], v[72:73], s[36:37]
	v_fma_f64 v[60:61], v[44:45], s[12:13], v[60:61]
	v_fma_f64 v[72:73], v[46:47], s[12:13], v[62:63]
	v_add_f64 v[18:19], v[60:61], v[18:19]
	v_fma_f64 v[60:61], v[46:47], s[12:13], -v[62:63]
	v_add_f64 v[62:63], v[170:171], v[130:131]
	v_add_f64 v[70:71], v[72:73], v[70:71]
	v_add_f64 v[72:73], v[168:169], -v[128:129]
	v_add_f64 v[16:17], v[60:61], v[16:17]
	v_add_f64 v[60:61], v[168:169], v[128:129]
	v_mul_f64 v[87:88], v[72:73], s[46:47]
	buffer_store_dword v87, off, s[60:63], 0 offset:800 ; 4-byte Folded Spill
	buffer_store_dword v88, off, s[60:63], 0 offset:804 ; 4-byte Folded Spill
	v_fma_f64 v[77:78], v[60:61], s[16:17], v[77:78]
	v_add_f64 v[20:21], v[77:78], v[20:21]
	v_fma_f64 v[77:78], v[62:63], s[16:17], -v[87:88]
	v_mul_f64 v[87:88], v[72:73], s[42:43]
	v_add_f64 v[22:23], v[77:78], v[22:23]
	v_mul_f64 v[77:78], v[74:75], s[42:43]
	buffer_store_dword v77, off, s[60:63], 0 offset:808 ; 4-byte Folded Spill
	buffer_store_dword v78, off, s[60:63], 0 offset:812 ; 4-byte Folded Spill
	;; [unrolled: 1-line block ×4, first 2 shown]
	v_fma_f64 v[77:78], v[60:61], s[20:21], v[77:78]
	v_add_f64 v[28:29], v[77:78], v[28:29]
	v_fma_f64 v[77:78], v[62:63], s[20:21], -v[87:88]
	v_mul_f64 v[87:88], v[72:73], s[52:53]
	v_add_f64 v[30:31], v[77:78], v[30:31]
	v_mul_f64 v[77:78], v[74:75], s[52:53]
	buffer_store_dword v77, off, s[60:63], 0 offset:824 ; 4-byte Folded Spill
	buffer_store_dword v78, off, s[60:63], 0 offset:828 ; 4-byte Folded Spill
	;; [unrolled: 1-line block ×4, first 2 shown]
	v_fma_f64 v[77:78], v[60:61], s[22:23], v[77:78]
	v_add_f64 v[32:33], v[77:78], v[32:33]
	v_fma_f64 v[77:78], v[62:63], s[22:23], -v[87:88]
	v_add_f64 v[34:35], v[77:78], v[34:35]
	v_mul_f64 v[77:78], v[74:75], s[40:41]
	v_fma_f64 v[87:88], v[60:61], s[2:3], -v[77:78]
	v_fma_f64 v[77:78], v[60:61], s[2:3], v[77:78]
	v_add_f64 v[36:37], v[87:88], v[36:37]
	v_mul_f64 v[87:88], v[72:73], s[40:41]
	v_add_f64 v[40:41], v[77:78], v[40:41]
	v_fma_f64 v[77:78], v[62:63], s[2:3], -v[87:88]
	v_fma_f64 v[89:90], v[62:63], s[2:3], v[87:88]
	v_add_f64 v[42:43], v[77:78], v[42:43]
	v_mul_f64 v[77:78], v[74:75], s[54:55]
	v_add_f64 v[38:39], v[89:90], v[38:39]
	;; [unrolled: 5-line block ×5, first 2 shown]
	v_fma_f64 v[77:78], v[62:63], s[12:13], -v[87:88]
	v_fma_f64 v[89:90], v[62:63], s[12:13], v[87:88]
	v_add_f64 v[58:59], v[77:78], v[58:59]
	v_mul_f64 v[77:78], v[74:75], s[50:51]
	v_mul_f64 v[74:75], v[74:75], s[38:39]
	v_add_f64 v[54:55], v[89:90], v[54:55]
	v_fma_f64 v[87:88], v[60:61], s[24:25], -v[77:78]
	v_fma_f64 v[77:78], v[60:61], s[24:25], v[77:78]
	v_add_f64 v[83:84], v[87:88], v[83:84]
	v_mul_f64 v[87:88], v[72:73], s[50:51]
	v_add_f64 v[64:65], v[77:78], v[64:65]
	v_mul_f64 v[72:73], v[72:73], s[38:39]
	v_fma_f64 v[77:78], v[62:63], s[24:25], -v[87:88]
	v_fma_f64 v[89:90], v[62:63], s[24:25], v[87:88]
	v_add_f64 v[66:67], v[77:78], v[66:67]
	v_fma_f64 v[77:78], v[60:61], s[18:19], -v[74:75]
	v_fma_f64 v[74:75], v[60:61], s[18:19], v[74:75]
	v_add_f64 v[85:86], v[89:90], v[85:86]
	v_add_f64 v[68:69], v[77:78], v[68:69]
	v_fma_f64 v[77:78], v[62:63], s[18:19], v[72:73]
	v_add_f64 v[18:19], v[74:75], v[18:19]
	v_fma_f64 v[72:73], v[62:63], s[18:19], -v[72:73]
	v_add_f64 v[74:75], v[176:177], -v[132:133]
	v_add_f64 v[70:71], v[77:78], v[70:71]
	v_add_f64 v[77:78], v[178:179], -v[134:135]
	v_add_f64 v[72:73], v[72:73], v[16:17]
	v_mul_f64 v[252:253], v[74:75], s[26:27]
	v_mul_f64 v[188:189], v[74:75], s[56:57]
	;; [unrolled: 1-line block ×5, first 2 shown]
	v_fma_f64 v[16:17], v[246:247], s[22:23], v[204:205]
	v_add_f64 v[87:88], v[16:17], v[20:21]
	v_fma_f64 v[16:17], v[248:249], s[22:23], -v[252:253]
	v_fma_f64 v[20:21], v[246:247], s[18:19], v[190:191]
	v_add_f64 v[89:90], v[16:17], v[22:23]
	v_fma_f64 v[16:17], v[246:247], s[12:13], v[254:255]
	v_add_f64 v[96:97], v[20:21], v[32:33]
	v_add_f64 v[91:92], v[16:17], v[28:29]
	v_fma_f64 v[16:17], v[248:249], s[12:13], -v[188:189]
	v_add_f64 v[93:94], v[16:17], v[30:31]
	v_mul_f64 v[16:17], v[74:75], s[38:39]
	v_fma_f64 v[20:21], v[248:249], s[18:19], -v[16:17]
	v_add_f64 v[98:99], v[20:21], v[34:35]
	v_mul_f64 v[20:21], v[77:78], s[54:55]
	v_fma_f64 v[22:23], v[246:247], s[4:5], -v[20:21]
	v_fma_f64 v[20:21], v[246:247], s[4:5], v[20:21]
	v_add_f64 v[108:109], v[22:23], v[36:37]
	v_mul_f64 v[22:23], v[74:75], s[54:55]
	v_add_f64 v[40:41], v[20:21], v[40:41]
	v_fma_f64 v[20:21], v[248:249], s[4:5], -v[22:23]
	v_fma_f64 v[28:29], v[248:249], s[4:5], v[22:23]
	v_add_f64 v[42:43], v[20:21], v[42:43]
	v_mul_f64 v[20:21], v[77:78], s[42:43]
	v_add_f64 v[38:39], v[28:29], v[38:39]
	;; [unrolled: 5-line block ×8, first 2 shown]
	v_add_f64 v[77:78], v[184:185], -v[140:141]
	v_fma_f64 v[22:23], v[246:247], s[24:25], -v[20:21]
	v_fma_f64 v[20:21], v[246:247], s[24:25], v[20:21]
	v_mul_f64 v[32:33], v[77:78], s[52:53]
	v_mul_f64 v[36:37], v[77:78], s[44:45]
	v_add_f64 v[68:69], v[22:23], v[68:69]
	v_mul_f64 v[22:23], v[74:75], s[34:35]
	v_add_f64 v[74:75], v[20:21], v[18:19]
	v_add_f64 v[20:21], v[186:187], v[142:143]
	v_fma_f64 v[18:19], v[248:249], s[24:25], -v[22:23]
	v_fma_f64 v[28:29], v[248:249], s[24:25], v[22:23]
	v_mul_f64 v[22:23], v[110:111], s[34:35]
	v_add_f64 v[72:73], v[18:19], v[72:73]
	v_add_f64 v[18:19], v[184:185], v[140:141]
	;; [unrolled: 1-line block ×3, first 2 shown]
	v_mul_f64 v[28:29], v[77:78], s[34:35]
	v_fma_f64 v[30:31], v[18:19], s[24:25], v[22:23]
	v_add_f64 v[87:88], v[30:31], v[87:88]
	v_fma_f64 v[30:31], v[20:21], s[24:25], -v[28:29]
	v_add_f64 v[89:90], v[30:31], v[89:90]
	v_mul_f64 v[30:31], v[110:111], s[52:53]
	v_fma_f64 v[34:35], v[18:19], s[22:23], v[30:31]
	v_add_f64 v[91:92], v[34:35], v[91:92]
	v_fma_f64 v[34:35], v[20:21], s[22:23], -v[32:33]
	v_add_f64 v[93:94], v[34:35], v[93:94]
	;; [unrolled: 5-line block ×3, first 2 shown]
	v_mul_f64 v[112:113], v[110:111], s[36:37]
	v_fma_f64 v[114:115], v[18:19], s[12:13], -v[112:113]
	v_add_f64 v[108:109], v[114:115], v[108:109]
	v_mul_f64 v[114:115], v[77:78], s[36:37]
	v_fma_f64 v[124:125], v[20:21], s[12:13], v[114:115]
	v_add_f64 v[124:125], v[124:125], v[38:39]
	v_fma_f64 v[38:39], v[18:19], s[12:13], v[112:113]
	v_add_f64 v[112:113], v[38:39], v[40:41]
	v_fma_f64 v[38:39], v[20:21], s[12:13], -v[114:115]
	v_add_f64 v[114:115], v[38:39], v[42:43]
	v_mul_f64 v[38:39], v[110:111], s[28:29]
	v_fma_f64 v[40:41], v[18:19], s[16:17], -v[38:39]
	v_fma_f64 v[38:39], v[18:19], s[16:17], v[38:39]
	v_add_f64 v[79:80], v[40:41], v[79:80]
	v_mul_f64 v[40:41], v[77:78], s[28:29]
	v_add_f64 v[126:127], v[38:39], v[48:49]
	v_mul_f64 v[48:49], v[250:251], s[36:37]
	v_fma_f64 v[38:39], v[20:21], s[16:17], -v[40:41]
	v_fma_f64 v[42:43], v[20:21], s[16:17], v[40:41]
	v_add_f64 v[136:137], v[38:39], v[50:51]
	v_mul_f64 v[38:39], v[110:111], s[48:49]
	v_add_f64 v[81:82], v[42:43], v[81:82]
	v_fma_f64 v[40:41], v[18:19], s[18:19], -v[38:39]
	v_fma_f64 v[38:39], v[18:19], s[18:19], v[38:39]
	v_add_f64 v[138:139], v[40:41], v[52:53]
	v_mul_f64 v[40:41], v[77:78], s[48:49]
	v_add_f64 v[150:151], v[38:39], v[56:57]
	v_mul_f64 v[52:53], v[250:251], s[30:31]
	v_mul_f64 v[56:57], v[250:251], s[46:47]
	v_fma_f64 v[38:39], v[20:21], s[18:19], -v[40:41]
	v_fma_f64 v[42:43], v[20:21], s[18:19], v[40:41]
	v_add_f64 v[58:59], v[38:39], v[58:59]
	v_mul_f64 v[38:39], v[110:111], s[42:43]
	v_add_f64 v[148:149], v[42:43], v[54:55]
	v_fma_f64 v[40:41], v[18:19], s[20:21], -v[38:39]
	v_fma_f64 v[38:39], v[18:19], s[20:21], v[38:39]
	v_add_f64 v[192:193], v[40:41], v[83:84]
	v_mul_f64 v[40:41], v[77:78], s[42:43]
	v_add_f64 v[64:65], v[38:39], v[64:65]
	;; [unrolled: 5-line block ×3, first 2 shown]
	v_mul_f64 v[110:111], v[250:251], s[42:43]
	v_fma_f64 v[40:41], v[18:19], s[4:5], -v[38:39]
	v_fma_f64 v[38:39], v[18:19], s[4:5], v[38:39]
	v_add_f64 v[68:69], v[40:41], v[68:69]
	v_mul_f64 v[40:41], v[77:78], s[30:31]
	v_add_f64 v[77:78], v[38:39], v[74:75]
	v_fma_f64 v[42:43], v[20:21], s[4:5], v[40:41]
	v_fma_f64 v[38:39], v[20:21], s[4:5], -v[40:41]
	v_add_f64 v[40:41], v[182:183], v[146:147]
	v_add_f64 v[70:71], v[42:43], v[70:71]
	;; [unrolled: 1-line block ×4, first 2 shown]
	v_mul_f64 v[42:43], v[198:199], s[36:37]
	v_fma_f64 v[50:51], v[38:39], s[12:13], v[42:43]
	v_add_f64 v[196:197], v[50:51], v[87:88]
	v_fma_f64 v[50:51], v[40:41], s[12:13], -v[48:49]
	v_add_f64 v[202:203], v[50:51], v[89:90]
	v_mul_f64 v[50:51], v[198:199], s[30:31]
	v_fma_f64 v[54:55], v[38:39], s[4:5], v[50:51]
	v_add_f64 v[200:201], v[54:55], v[91:92]
	v_fma_f64 v[54:55], v[40:41], s[4:5], -v[52:53]
	v_add_f64 v[206:207], v[54:55], v[93:94]
	v_mul_f64 v[54:55], v[198:199], s[46:47]
	v_fma_f64 v[72:73], v[38:39], s[16:17], v[54:55]
	v_add_f64 v[93:94], v[72:73], v[96:97]
	v_fma_f64 v[72:73], v[40:41], s[16:17], -v[56:57]
	v_mul_f64 v[96:97], v[250:251], s[44:45]
	v_add_f64 v[91:92], v[72:73], v[98:99]
	v_mul_f64 v[72:73], v[198:199], s[50:51]
	v_fma_f64 v[98:99], v[40:41], s[20:21], v[110:111]
	v_fma_f64 v[110:111], v[40:41], s[20:21], -v[110:111]
	v_fma_f64 v[74:75], v[38:39], s[24:25], -v[72:73]
	v_fma_f64 v[72:73], v[38:39], s[24:25], v[72:73]
	v_add_f64 v[110:111], v[110:111], v[58:59]
	v_mul_f64 v[58:59], v[198:199], s[38:39]
	v_add_f64 v[98:99], v[98:99], v[148:149]
	v_add_f64 v[87:88], v[74:75], v[108:109]
	v_mul_f64 v[74:75], v[250:251], s[50:51]
	v_add_f64 v[85:86], v[72:73], v[112:113]
	v_fma_f64 v[112:113], v[38:39], s[18:19], -v[58:59]
	v_fma_f64 v[58:59], v[38:39], s[18:19], v[58:59]
	v_mul_f64 v[108:109], v[198:199], s[42:43]
	v_fma_f64 v[83:84], v[40:41], s[24:25], v[74:75]
	v_fma_f64 v[72:73], v[40:41], s[24:25], -v[74:75]
	v_add_f64 v[112:113], v[112:113], v[192:193]
	v_add_f64 v[89:90], v[83:84], v[124:125]
	;; [unrolled: 1-line block ×3, first 2 shown]
	v_mul_f64 v[72:73], v[198:199], s[44:45]
	v_add_f64 v[124:125], v[58:59], v[64:65]
	v_fma_f64 v[74:75], v[38:39], s[2:3], -v[72:73]
	v_fma_f64 v[72:73], v[38:39], s[2:3], v[72:73]
	v_add_f64 v[79:80], v[74:75], v[79:80]
	v_fma_f64 v[74:75], v[40:41], s[2:3], v[96:97]
	v_add_f64 v[81:82], v[74:75], v[81:82]
	v_add_f64 v[74:75], v[72:73], v[126:127]
	v_mul_f64 v[126:127], v[250:251], s[38:39]
	v_fma_f64 v[72:73], v[40:41], s[2:3], -v[96:97]
	v_fma_f64 v[96:97], v[38:39], s[20:21], -v[108:109]
	v_fma_f64 v[108:109], v[38:39], s[20:21], v[108:109]
	v_fma_f64 v[58:59], v[40:41], s[18:19], -v[126:127]
	v_fma_f64 v[114:115], v[40:41], s[18:19], v[126:127]
	v_add_f64 v[72:73], v[72:73], v[136:137]
	v_add_f64 v[96:97], v[96:97], v[138:139]
	v_add_f64 v[108:109], v[108:109], v[150:151]
	v_add_f64 v[126:127], v[58:59], v[66:67]
	v_mul_f64 v[58:59], v[198:199], s[26:27]
	v_add_f64 v[114:115], v[114:115], v[194:195]
	v_add_f64 v[194:195], v[172:173], -v[160:161]
	v_fma_f64 v[64:65], v[38:39], s[22:23], -v[58:59]
	v_fma_f64 v[58:59], v[38:39], s[22:23], v[58:59]
	v_add_f64 v[136:137], v[64:65], v[68:69]
	v_mul_f64 v[64:65], v[250:251], s[26:27]
	v_add_f64 v[148:149], v[58:59], v[77:78]
	v_add_f64 v[250:251], v[174:175], -v[162:163]
	v_mul_f64 v[68:69], v[194:195], s[42:43]
	v_mul_f64 v[77:78], v[194:195], s[40:41]
	v_fma_f64 v[66:67], v[40:41], s[22:23], v[64:65]
	v_fma_f64 v[58:59], v[40:41], s[22:23], -v[64:65]
	v_add_f64 v[64:65], v[174:175], v[162:163]
	v_add_f64 v[138:139], v[66:67], v[70:71]
	;; [unrolled: 1-line block ×4, first 2 shown]
	v_mul_f64 v[66:67], v[250:251], s[42:43]
	v_mul_f64 v[244:245], v[250:251], s[36:37]
	v_fma_f64 v[70:71], v[58:59], s[20:21], v[66:67]
	v_add_f64 v[196:197], v[70:71], v[196:197]
	v_fma_f64 v[70:71], v[64:65], s[20:21], -v[68:69]
	v_add_f64 v[198:199], v[70:71], v[202:203]
	v_mul_f64 v[70:71], v[250:251], s[40:41]
	buffer_store_dword v196, off, s[60:63], 0 offset:4 ; 4-byte Folded Spill
	buffer_store_dword v197, off, s[60:63], 0 offset:8 ; 4-byte Folded Spill
	;; [unrolled: 1-line block ×4, first 2 shown]
	v_fma_f64 v[192:193], v[58:59], s[2:3], v[70:71]
	v_add_f64 v[196:197], v[192:193], v[200:201]
	v_fma_f64 v[192:193], v[64:65], s[2:3], -v[77:78]
	v_add_f64 v[198:199], v[192:193], v[206:207]
	buffer_store_dword v196, off, s[60:63], 0 offset:20 ; 4-byte Folded Spill
	buffer_store_dword v197, off, s[60:63], 0 offset:24 ; 4-byte Folded Spill
	buffer_store_dword v198, off, s[60:63], 0 offset:28 ; 4-byte Folded Spill
	buffer_store_dword v199, off, s[60:63], 0 offset:32 ; 4-byte Folded Spill
	v_mul_f64 v[192:193], v[194:195], s[36:37]
	v_fma_f64 v[196:197], v[58:59], s[12:13], v[244:245]
	v_add_f64 v[196:197], v[196:197], v[93:94]
	v_fma_f64 v[93:94], v[64:65], s[12:13], -v[192:193]
	v_add_f64 v[198:199], v[93:94], v[91:92]
	v_mul_f64 v[91:92], v[250:251], s[38:39]
	buffer_store_dword v196, off, s[60:63], 0 offset:36 ; 4-byte Folded Spill
	buffer_store_dword v197, off, s[60:63], 0 offset:40 ; 4-byte Folded Spill
	;; [unrolled: 1-line block ×4, first 2 shown]
	v_fma_f64 v[93:94], v[58:59], s[18:19], -v[91:92]
	v_add_f64 v[196:197], v[93:94], v[87:88]
	v_mul_f64 v[87:88], v[194:195], s[38:39]
	v_fma_f64 v[93:94], v[64:65], s[18:19], v[87:88]
	v_add_f64 v[198:199], v[93:94], v[89:90]
	v_fma_f64 v[89:90], v[58:59], s[18:19], v[91:92]
	buffer_store_dword v196, off, s[60:63], 0 offset:52 ; 4-byte Folded Spill
	buffer_store_dword v197, off, s[60:63], 0 offset:56 ; 4-byte Folded Spill
	;; [unrolled: 1-line block ×4, first 2 shown]
	v_add_f64 v[89:90], v[89:90], v[85:86]
	v_fma_f64 v[85:86], v[64:65], s[18:19], -v[87:88]
	v_add_f64 v[91:92], v[85:86], v[83:84]
	v_mul_f64 v[83:84], v[250:251], s[34:35]
	buffer_store_dword v89, off, s[60:63], 0 offset:68 ; 4-byte Folded Spill
	buffer_store_dword v90, off, s[60:63], 0 offset:72 ; 4-byte Folded Spill
	;; [unrolled: 1-line block ×4, first 2 shown]
	v_fma_f64 v[85:86], v[58:59], s[24:25], -v[83:84]
	v_add_f64 v[87:88], v[85:86], v[79:80]
	v_mul_f64 v[79:80], v[194:195], s[34:35]
	v_fma_f64 v[85:86], v[64:65], s[24:25], v[79:80]
	v_add_f64 v[89:90], v[85:86], v[81:82]
	v_fma_f64 v[81:82], v[58:59], s[24:25], v[83:84]
	buffer_store_dword v87, off, s[60:63], 0 offset:84 ; 4-byte Folded Spill
	buffer_store_dword v88, off, s[60:63], 0 offset:88 ; 4-byte Folded Spill
	buffer_store_dword v89, off, s[60:63], 0 offset:92 ; 4-byte Folded Spill
	buffer_store_dword v90, off, s[60:63], 0 offset:96 ; 4-byte Folded Spill
	v_add_f64 v[81:82], v[81:82], v[74:75]
	v_fma_f64 v[74:75], v[64:65], s[24:25], -v[79:80]
	v_add_f64 v[83:84], v[74:75], v[72:73]
	v_mul_f64 v[72:73], v[250:251], s[30:31]
	buffer_store_dword v81, off, s[60:63], 0 offset:100 ; 4-byte Folded Spill
	buffer_store_dword v82, off, s[60:63], 0 offset:104 ; 4-byte Folded Spill
	buffer_store_dword v83, off, s[60:63], 0 offset:108 ; 4-byte Folded Spill
	buffer_store_dword v84, off, s[60:63], 0 offset:112 ; 4-byte Folded Spill
	v_fma_f64 v[74:75], v[58:59], s[4:5], -v[72:73]
	v_fma_f64 v[72:73], v[58:59], s[4:5], v[72:73]
	v_add_f64 v[81:82], v[74:75], v[96:97]
	v_mul_f64 v[74:75], v[194:195], s[30:31]
	v_fma_f64 v[79:80], v[64:65], s[4:5], v[74:75]
	v_add_f64 v[83:84], v[79:80], v[98:99]
	v_add_f64 v[79:80], v[72:73], v[108:109]
	v_fma_f64 v[72:73], v[64:65], s[4:5], -v[74:75]
	buffer_store_dword v81, off, s[60:63], 0 offset:116 ; 4-byte Folded Spill
	buffer_store_dword v82, off, s[60:63], 0 offset:120 ; 4-byte Folded Spill
	buffer_store_dword v83, off, s[60:63], 0 offset:124 ; 4-byte Folded Spill
	buffer_store_dword v84, off, s[60:63], 0 offset:128 ; 4-byte Folded Spill
	v_add_f64 v[81:82], v[72:73], v[110:111]
	v_mul_f64 v[72:73], v[250:251], s[26:27]
	buffer_store_dword v79, off, s[60:63], 0 offset:132 ; 4-byte Folded Spill
	buffer_store_dword v80, off, s[60:63], 0 offset:136 ; 4-byte Folded Spill
	buffer_store_dword v81, off, s[60:63], 0 offset:140 ; 4-byte Folded Spill
	buffer_store_dword v82, off, s[60:63], 0 offset:144 ; 4-byte Folded Spill
	v_fma_f64 v[74:75], v[58:59], s[22:23], -v[72:73]
	v_fma_f64 v[72:73], v[58:59], s[22:23], v[72:73]
	v_add_f64 v[81:82], v[74:75], v[112:113]
	v_mul_f64 v[74:75], v[194:195], s[26:27]
	v_fma_f64 v[79:80], v[64:65], s[22:23], v[74:75]
	v_add_f64 v[83:84], v[79:80], v[114:115]
	v_add_f64 v[79:80], v[72:73], v[124:125]
	v_fma_f64 v[72:73], v[64:65], s[22:23], -v[74:75]
	buffer_store_dword v81, off, s[60:63], 0 offset:148 ; 4-byte Folded Spill
	buffer_store_dword v82, off, s[60:63], 0 offset:152 ; 4-byte Folded Spill
	buffer_store_dword v83, off, s[60:63], 0 offset:156 ; 4-byte Folded Spill
	buffer_store_dword v84, off, s[60:63], 0 offset:160 ; 4-byte Folded Spill
	;; [unrolled: 18-line block ×3, first 2 shown]
	v_add_f64 v[81:82], v[72:73], v[150:151]
	buffer_store_dword v79, off, s[60:63], 0 offset:196 ; 4-byte Folded Spill
	buffer_store_dword v80, off, s[60:63], 0 offset:200 ; 4-byte Folded Spill
	;; [unrolled: 1-line block ×4, first 2 shown]
	s_waitcnt_vscnt null, 0x0
	s_barrier
	buffer_gl0_inv
	s_clause 0x1
	buffer_load_dword v72, off, s[60:63], 0
	buffer_load_dword v136, off, s[60:63], 0 offset:664
	s_waitcnt vmcnt(1)
	v_mul_lo_u16 v72, v72, 17
	s_waitcnt vmcnt(0)
	v_lshlrev_b32_e32 v98, 4, v136
	v_and_b32_e32 v72, 0xffff, v72
	v_lshl_add_u32 v99, v72, 4, v98
	s_clause 0x3
	buffer_load_dword v72, off, s[60:63], 0 offset:528
	buffer_load_dword v73, off, s[60:63], 0 offset:532
	;; [unrolled: 1-line block ×4, first 2 shown]
	s_waitcnt vmcnt(0)
	ds_write_b128 v99, v[72:75]
	s_clause 0x3
	buffer_load_dword v72, off, s[60:63], 0 offset:560
	buffer_load_dword v73, off, s[60:63], 0 offset:564
	buffer_load_dword v74, off, s[60:63], 0 offset:568
	buffer_load_dword v75, off, s[60:63], 0 offset:572
	s_waitcnt vmcnt(0)
	ds_write_b128 v99, v[72:75] offset:16
	s_clause 0x3
	buffer_load_dword v72, off, s[60:63], 0 offset:592
	buffer_load_dword v73, off, s[60:63], 0 offset:596
	;; [unrolled: 1-line block ×4, first 2 shown]
	s_waitcnt vmcnt(0)
	ds_write_b128 v99, v[72:75] offset:32
	ds_write_b128 v99, v[212:215] offset:48
	;; [unrolled: 1-line block ×13, first 2 shown]
	s_clause 0x3
	buffer_load_dword v0, off, s[60:63], 0 offset:576
	buffer_load_dword v1, off, s[60:63], 0 offset:580
	;; [unrolled: 1-line block ×4, first 2 shown]
	s_waitcnt vmcnt(0)
	ds_write_b128 v99, v[0:3] offset:240
	s_clause 0x3
	buffer_load_dword v0, off, s[60:63], 0 offset:544
	buffer_load_dword v1, off, s[60:63], 0 offset:548
	;; [unrolled: 1-line block ×4, first 2 shown]
	s_waitcnt vmcnt(0)
	ds_write_b128 v99, v[0:3] offset:256
	buffer_load_dword v0, off, s[60:63], 0 offset:524 ; 4-byte Folded Reload
	s_waitcnt vmcnt(0)
	v_mul_u32_u24_e32 v0, 17, v0
	buffer_store_dword v0, off, s[60:63], 0 offset:524 ; 4-byte Folded Spill
	s_and_saveexec_b32 s26, vcc_lo
	s_cbranch_execz .LBB0_7
; %bb.6:
	s_clause 0x5
	buffer_load_dword v6, off, s[60:63], 0 offset:668
	buffer_load_dword v7, off, s[60:63], 0 offset:672
	;; [unrolled: 1-line block ×6, first 2 shown]
	v_mul_f64 v[4:5], v[14:15], s[4:5]
	v_add_f64 v[0:1], v[122:123], v[154:155]
	v_add_f64 v[2:3], v[120:121], v[152:153]
	v_mul_f64 v[124:125], v[20:21], s[2:3]
	v_mul_f64 v[112:113], v[248:249], s[12:13]
	;; [unrolled: 1-line block ×3, first 2 shown]
	v_add_f64 v[0:1], v[0:1], v[158:159]
	v_add_f64 v[2:3], v[2:3], v[156:157]
	;; [unrolled: 1-line block ×3, first 2 shown]
	v_mul_f64 v[124:125], v[18:19], s[2:3]
	v_add_f64 v[112:113], v[188:189], v[112:113]
	v_add_f64 v[114:115], v[114:115], -v[254:255]
	v_add_f64 v[0:1], v[0:1], v[166:167]
	v_add_f64 v[2:3], v[2:3], v[164:165]
	v_add_f64 v[34:35], v[124:125], -v[34:35]
	v_mul_f64 v[124:125], v[20:21], s[22:23]
	v_mul_f64 v[20:21], v[20:21], s[24:25]
	v_add_f64 v[0:1], v[0:1], v[170:171]
	v_add_f64 v[2:3], v[2:3], v[168:169]
	;; [unrolled: 1-line block ×3, first 2 shown]
	v_mul_f64 v[124:125], v[18:19], s[22:23]
	v_mul_f64 v[18:19], v[18:19], s[24:25]
	v_add_f64 v[20:21], v[28:29], v[20:21]
	v_mul_f64 v[28:29], v[38:39], s[16:17]
	v_add_f64 v[0:1], v[0:1], v[178:179]
	v_add_f64 v[2:3], v[2:3], v[176:177]
	v_add_f64 v[30:31], v[124:125], -v[30:31]
	v_add_f64 v[18:19], v[18:19], -v[22:23]
	v_mul_f64 v[22:23], v[40:41], s[16:17]
	v_add_f64 v[28:29], v[28:29], -v[54:55]
	v_add_f64 v[0:1], v[0:1], v[186:187]
	v_add_f64 v[2:3], v[2:3], v[184:185]
	;; [unrolled: 1-line block ×19, first 2 shown]
	s_waitcnt vmcnt(4)
	v_add_f64 v[4:5], v[6:7], v[4:5]
	v_mul_f64 v[6:7], v[12:13], s[4:5]
	v_add_f64 v[4:5], v[122:123], v[4:5]
	s_waitcnt vmcnt(2)
	v_add_f64 v[6:7], v[6:7], -v[8:9]
	v_mul_f64 v[8:9], v[14:15], s[18:19]
	v_add_f64 v[6:7], v[120:121], v[6:7]
	s_waitcnt vmcnt(0)
	v_add_f64 v[8:9], v[10:11], v[8:9]
	v_mul_f64 v[10:11], v[14:15], s[2:3]
	s_clause 0x3
	buffer_load_dword v14, off, s[60:63], 0 offset:624
	buffer_load_dword v15, off, s[60:63], 0 offset:628
	;; [unrolled: 1-line block ×4, first 2 shown]
	v_add_f64 v[8:9], v[122:123], v[8:9]
	s_waitcnt vmcnt(2)
	v_add_f64 v[10:11], v[14:15], v[10:11]
	v_mul_f64 v[14:15], v[12:13], s[2:3]
	v_mul_f64 v[12:13], v[12:13], s[18:19]
	v_add_f64 v[10:11], v[122:123], v[10:11]
	s_waitcnt vmcnt(0)
	v_add_f64 v[14:15], v[14:15], -v[72:73]
	s_clause 0x9
	buffer_load_dword v72, off, s[60:63], 0 offset:640
	buffer_load_dword v73, off, s[60:63], 0 offset:644
	;; [unrolled: 1-line block ×10, first 2 shown]
	v_mul_f64 v[122:123], v[246:247], s[22:23]
	v_add_f64 v[14:15], v[120:121], v[14:15]
	v_add_f64 v[122:123], v[122:123], -v[204:205]
	s_waitcnt vmcnt(8)
	v_add_f64 v[12:13], v[12:13], -v[72:73]
	v_mul_f64 v[72:73], v[26:27], s[24:25]
	v_add_f64 v[12:13], v[120:121], v[12:13]
	s_waitcnt vmcnt(6)
	v_add_f64 v[72:73], v[74:75], v[72:73]
	v_mul_f64 v[74:75], v[24:25], s[24:25]
	v_mul_f64 v[120:121], v[248:249], s[22:23]
	v_add_f64 v[4:5], v[72:73], v[4:5]
	s_waitcnt vmcnt(4)
	v_add_f64 v[74:75], v[74:75], -v[79:80]
	v_mul_f64 v[79:80], v[26:27], s[16:17]
	v_mul_f64 v[26:27], v[26:27], s[18:19]
	v_add_f64 v[120:121], v[252:253], v[120:121]
	v_add_f64 v[6:7], v[74:75], v[6:7]
	s_waitcnt vmcnt(2)
	v_add_f64 v[79:80], v[81:82], v[79:80]
	v_mul_f64 v[81:82], v[24:25], s[16:17]
	v_mul_f64 v[24:25], v[24:25], s[18:19]
	v_add_f64 v[8:9], v[79:80], v[8:9]
	s_waitcnt vmcnt(0)
	v_add_f64 v[81:82], v[81:82], -v[83:84]
	s_clause 0x1
	buffer_load_dword v83, off, s[60:63], 0 offset:704
	buffer_load_dword v84, off, s[60:63], 0 offset:708
	v_add_f64 v[12:13], v[81:82], v[12:13]
	s_waitcnt vmcnt(0)
	v_add_f64 v[26:27], v[83:84], v[26:27]
	s_clause 0x9
	buffer_load_dword v83, off, s[60:63], 0 offset:676
	buffer_load_dword v84, off, s[60:63], 0 offset:680
	;; [unrolled: 1-line block ×10, first 2 shown]
	v_add_f64 v[10:11], v[26:27], v[10:11]
	v_mul_f64 v[26:27], v[38:39], s[4:5]
	v_add_f64 v[26:27], v[26:27], -v[50:51]
	s_waitcnt vmcnt(8)
	v_add_f64 v[24:25], v[24:25], -v[83:84]
	v_mul_f64 v[83:84], v[46:47], s[20:21]
	v_add_f64 v[14:15], v[24:25], v[14:15]
	s_waitcnt vmcnt(6)
	v_add_f64 v[83:84], v[85:86], v[83:84]
	v_mul_f64 v[85:86], v[44:45], s[20:21]
	v_mul_f64 v[24:25], v[40:41], s[4:5]
	;; [unrolled: 1-line block ×3, first 2 shown]
	v_add_f64 v[4:5], v[83:84], v[4:5]
	s_waitcnt vmcnt(4)
	v_add_f64 v[85:86], v[85:86], -v[87:88]
	v_mul_f64 v[87:88], v[46:47], s[24:25]
	v_mul_f64 v[46:47], v[46:47], s[4:5]
	v_add_f64 v[24:25], v[52:53], v[24:25]
	v_add_f64 v[40:41], v[48:49], v[40:41]
	;; [unrolled: 1-line block ×3, first 2 shown]
	s_waitcnt vmcnt(2)
	v_add_f64 v[87:88], v[89:90], v[87:88]
	v_mul_f64 v[89:90], v[44:45], s[24:25]
	v_mul_f64 v[44:45], v[44:45], s[4:5]
	v_add_f64 v[8:9], v[87:88], v[8:9]
	s_waitcnt vmcnt(0)
	v_add_f64 v[89:90], v[89:90], -v[91:92]
	s_clause 0x1
	buffer_load_dword v91, off, s[60:63], 0 offset:752
	buffer_load_dword v92, off, s[60:63], 0 offset:756
	v_add_f64 v[12:13], v[89:90], v[12:13]
	s_waitcnt vmcnt(0)
	v_add_f64 v[46:47], v[91:92], v[46:47]
	s_clause 0x9
	buffer_load_dword v91, off, s[60:63], 0 offset:744
	buffer_load_dword v92, off, s[60:63], 0 offset:748
	buffer_load_dword v93, off, s[60:63], 0 offset:832
	buffer_load_dword v94, off, s[60:63], 0 offset:836
	buffer_load_dword v96, off, s[60:63], 0 offset:824
	buffer_load_dword v97, off, s[60:63], 0 offset:828
	buffer_load_dword v108, off, s[60:63], 0 offset:816
	buffer_load_dword v109, off, s[60:63], 0 offset:820
	buffer_load_dword v110, off, s[60:63], 0 offset:808
	buffer_load_dword v111, off, s[60:63], 0 offset:812
	v_add_f64 v[10:11], v[46:47], v[10:11]
	s_waitcnt vmcnt(8)
	v_add_f64 v[44:45], v[44:45], -v[91:92]
	v_mul_f64 v[91:92], v[62:63], s[22:23]
	v_add_f64 v[14:15], v[44:45], v[14:15]
	s_waitcnt vmcnt(6)
	v_add_f64 v[91:92], v[93:94], v[91:92]
	v_mul_f64 v[93:94], v[60:61], s[22:23]
	v_mul_f64 v[44:45], v[58:59], s[20:21]
	v_add_f64 v[4:5], v[91:92], v[4:5]
	s_waitcnt vmcnt(4)
	v_add_f64 v[93:94], v[93:94], -v[96:97]
	v_mul_f64 v[96:97], v[62:63], s[20:21]
	v_mul_f64 v[62:63], v[62:63], s[16:17]
	v_add_f64 v[6:7], v[93:94], v[6:7]
	s_waitcnt vmcnt(2)
	v_add_f64 v[96:97], v[108:109], v[96:97]
	v_mul_f64 v[108:109], v[60:61], s[20:21]
	v_mul_f64 v[60:61], v[60:61], s[16:17]
	v_add_f64 v[8:9], v[96:97], v[8:9]
	s_waitcnt vmcnt(0)
	v_add_f64 v[108:109], v[108:109], -v[110:111]
	s_clause 0x1
	buffer_load_dword v110, off, s[60:63], 0 offset:800
	buffer_load_dword v111, off, s[60:63], 0 offset:804
	v_add_f64 v[8:9], v[112:113], v[8:9]
	v_add_f64 v[12:13], v[108:109], v[12:13]
	;; [unrolled: 1-line block ×4, first 2 shown]
	v_mul_f64 v[32:33], v[58:59], s[2:3]
	v_add_f64 v[8:9], v[24:25], v[8:9]
	v_add_f64 v[12:13], v[30:31], v[12:13]
	v_add_f64 v[32:33], v[32:33], -v[70:71]
	v_add_f64 v[12:13], v[26:27], v[12:13]
	s_waitcnt vmcnt(0)
	v_add_f64 v[62:63], v[110:111], v[62:63]
	s_clause 0x1
	buffer_load_dword v110, off, s[60:63], 0 offset:792
	buffer_load_dword v111, off, s[60:63], 0 offset:796
	v_add_f64 v[10:11], v[62:63], v[10:11]
	v_add_f64 v[10:11], v[120:121], v[10:11]
	;; [unrolled: 1-line block ×4, first 2 shown]
	s_waitcnt vmcnt(0)
	v_add_f64 v[60:61], v[60:61], -v[110:111]
	v_mul_f64 v[110:111], v[248:249], s[18:19]
	v_add_f64 v[14:15], v[60:61], v[14:15]
	v_add_f64 v[16:17], v[16:17], v[110:111]
	v_mul_f64 v[110:111], v[246:247], s[18:19]
	v_add_f64 v[14:15], v[122:123], v[14:15]
	v_add_f64 v[4:5], v[16:17], v[4:5]
	v_add_f64 v[110:111], v[110:111], -v[190:191]
	v_mul_f64 v[16:17], v[38:39], s[12:13]
	v_mul_f64 v[38:39], v[64:65], s[2:3]
	v_add_f64 v[14:15], v[18:19], v[14:15]
	v_add_f64 v[4:5], v[36:37], v[4:5]
	;; [unrolled: 1-line block ×3, first 2 shown]
	v_add_f64 v[16:17], v[16:17], -v[42:43]
	v_mul_f64 v[36:37], v[64:65], s[12:13]
	v_add_f64 v[30:31], v[77:78], v[38:39]
	v_mul_f64 v[42:43], v[64:65], s[20:21]
	v_add_f64 v[4:5], v[22:23], v[4:5]
	v_add_f64 v[6:7], v[34:35], v[6:7]
	v_mul_f64 v[34:35], v[58:59], s[12:13]
	v_add_f64 v[18:19], v[192:193], v[36:37]
	v_add_f64 v[36:37], v[44:45], -v[66:67]
	v_add_f64 v[14:15], v[16:17], v[14:15]
	v_add_f64 v[16:17], v[0:1], v[102:103]
	;; [unrolled: 1-line block ×4, first 2 shown]
	v_add_f64 v[20:21], v[34:35], -v[244:245]
	v_add_f64 v[2:3], v[18:19], v[4:5]
	v_add_f64 v[34:35], v[68:69], v[42:43]
	v_add_f64 v[4:5], v[32:33], v[12:13]
	v_add_f64 v[12:13], v[22:23], v[104:105]
	v_add_f64 v[0:1], v[20:21], v[6:7]
	v_add_f64 v[6:7], v[30:31], v[8:9]
	v_add_f64 v[8:9], v[36:37], v[14:15]
	v_add_f64 v[14:15], v[16:17], v[106:107]
	s_clause 0x4
	buffer_load_dword v16, off, s[60:63], 0 offset:524
	buffer_load_dword v17, off, s[60:63], 0 offset:52
	;; [unrolled: 1-line block ×5, first 2 shown]
	v_add_f64 v[10:11], v[34:35], v[10:11]
	s_waitcnt vmcnt(4)
	v_lshl_add_u32 v16, v16, 4, v98
	s_waitcnt vmcnt(0)
	ds_write_b128 v16, v[17:20] offset:64
	s_clause 0x3
	buffer_load_dword v17, off, s[60:63], 0 offset:84
	buffer_load_dword v18, off, s[60:63], 0 offset:88
	buffer_load_dword v19, off, s[60:63], 0 offset:92
	buffer_load_dword v20, off, s[60:63], 0 offset:96
	s_waitcnt vmcnt(0)
	ds_write_b128 v16, v[17:20] offset:80
	s_clause 0x3
	buffer_load_dword v17, off, s[60:63], 0 offset:116
	buffer_load_dword v18, off, s[60:63], 0 offset:120
	buffer_load_dword v19, off, s[60:63], 0 offset:124
	buffer_load_dword v20, off, s[60:63], 0 offset:128
	;; [unrolled: 7-line block ×11, first 2 shown]
	s_waitcnt vmcnt(0)
	ds_write_b128 v16, v[17:20] offset:240
	ds_write_b128 v16, v[8:11] offset:16
	;; [unrolled: 1-line block ×4, first 2 shown]
	ds_write_b128 v16, v[12:15]
	s_clause 0x3
	buffer_load_dword v0, off, s[60:63], 0 offset:4
	buffer_load_dword v1, off, s[60:63], 0 offset:8
	;; [unrolled: 1-line block ×4, first 2 shown]
	s_waitcnt vmcnt(0)
	ds_write_b128 v16, v[0:3] offset:256
.LBB0_7:
	s_or_b32 exec_lo, exec_lo, s26
	s_waitcnt lgkmcnt(0)
	s_waitcnt_vscnt null, 0x0
	s_barrier
	buffer_gl0_inv
	ds_read_b128 v[24:27], v76
	ds_read_b128 v[52:55], v76 offset:1904
	ds_read_b128 v[56:59], v76 offset:3808
	;; [unrolled: 1-line block ×20, first 2 shown]
	buffer_load_dword v94, off, s[60:63], 0 ; 4-byte Folded Reload
	s_mov_b32 s4, 0xe8584caa
	s_mov_b32 s5, 0x3febb67a
	;; [unrolled: 1-line block ×18, first 2 shown]
	s_add_u32 s2, s6, 0x1650
	s_addc_u32 s3, s7, 0
	s_waitcnt vmcnt(0)
	v_lshlrev_b32_e32 v60, 5, v94
	s_clause 0x1
	global_load_dwordx4 v[100:103], v60, s[0:1] offset:16
	global_load_dwordx4 v[104:107], v60, s[0:1]
	v_add_nc_u16 v85, v94, 0x44
	v_and_b32_e32 v86, 0xff, v85
	v_mul_lo_u16 v86, 0xf1, v86
	v_lshrrev_b16 v86, 12, v86
	v_mul_lo_u16 v86, v86, 17
	s_waitcnt vmcnt(0) lgkmcnt(19)
	v_mul_f64 v[60:61], v[54:55], v[106:107]
	v_fma_f64 v[60:61], v[52:53], v[104:105], -v[60:61]
	v_mul_f64 v[52:53], v[52:53], v[106:107]
	v_fma_f64 v[64:65], v[54:55], v[104:105], v[52:53]
	s_waitcnt lgkmcnt(18)
	v_mul_f64 v[52:53], v[58:59], v[102:103]
	s_waitcnt lgkmcnt(16)
	v_mul_f64 v[54:55], v[68:69], v[106:107]
	v_fma_f64 v[62:63], v[56:57], v[100:101], -v[52:53]
	v_mul_f64 v[52:53], v[56:57], v[102:103]
	v_fma_f64 v[56:57], v[70:71], v[104:105], v[54:55]
	s_waitcnt lgkmcnt(15)
	v_mul_f64 v[54:55], v[74:75], v[102:103]
	v_fma_f64 v[66:67], v[58:59], v[100:101], v[52:53]
	v_mul_f64 v[52:53], v[70:71], v[106:107]
	v_mul_f64 v[58:59], v[72:73], v[102:103]
	v_fma_f64 v[54:55], v[72:73], v[100:101], -v[54:55]
	v_fma_f64 v[52:53], v[68:69], v[104:105], -v[52:53]
	v_add_nc_u16 v68, v94, 34
	v_fma_f64 v[58:59], v[74:75], v[100:101], v[58:59]
	v_and_b32_e32 v69, 0xff, v68
	v_mul_lo_u16 v69, 0xf1, v69
	v_lshrrev_b16 v69, 12, v69
	v_mul_lo_u16 v69, v69, 17
	v_sub_nc_u16 v87, v68, v69
	v_lshlrev_b16 v68, 1, v87
	v_and_b32_e32 v68, 0xfe, v68
	v_lshlrev_b32_e32 v68, 4, v68
	s_clause 0x1
	global_load_dwordx4 v[112:115], v68, s[0:1] offset:16
	global_load_dwordx4 v[72:75], v68, s[0:1]
	s_waitcnt vmcnt(0) lgkmcnt(13)
	v_mul_f64 v[68:69], v[79:80], v[74:75]
	v_mul_f64 v[70:71], v[77:78], v[74:75]
	v_fma_f64 v[68:69], v[77:78], v[72:73], -v[68:69]
	buffer_store_dword v72, off, s[60:63], 0 offset:544 ; 4-byte Folded Spill
	buffer_store_dword v73, off, s[60:63], 0 offset:548 ; 4-byte Folded Spill
	;; [unrolled: 1-line block ×4, first 2 shown]
	s_waitcnt lgkmcnt(12)
	v_mul_f64 v[74:75], v[81:82], v[114:115]
	v_add_nc_u16 v77, v94, 51
	v_and_b32_e32 v78, 0xff, v77
	v_mul_lo_u16 v78, 0xf1, v78
	v_lshrrev_b16 v78, 12, v78
	v_mul_lo_u16 v78, v78, 17
	v_sub_nc_u16 v88, v77, v78
	v_lshlrev_b16 v77, 1, v88
	v_and_b32_e32 v77, 0xfe, v77
	v_lshlrev_b32_e32 v77, 4, v77
	v_fma_f64 v[70:71], v[79:80], v[72:73], v[70:71]
	v_mul_f64 v[72:73], v[83:84], v[114:115]
	v_fma_f64 v[72:73], v[81:82], v[112:113], -v[72:73]
	buffer_store_dword v112, off, s[60:63], 0 offset:528 ; 4-byte Folded Spill
	buffer_store_dword v113, off, s[60:63], 0 offset:532 ; 4-byte Folded Spill
	;; [unrolled: 1-line block ×4, first 2 shown]
	v_fma_f64 v[74:75], v[83:84], v[112:113], v[74:75]
	s_clause 0x1
	global_load_dwordx4 v[112:115], v77, s[0:1] offset:16
	global_load_dwordx4 v[81:84], v77, s[0:1]
	s_waitcnt vmcnt(0) lgkmcnt(10)
	v_mul_f64 v[77:78], v[91:92], v[83:84]
	v_mul_f64 v[79:80], v[89:90], v[83:84]
	v_fma_f64 v[77:78], v[89:90], v[81:82], -v[77:78]
	buffer_store_dword v81, off, s[60:63], 0 offset:576 ; 4-byte Folded Spill
	buffer_store_dword v82, off, s[60:63], 0 offset:580 ; 4-byte Folded Spill
	;; [unrolled: 1-line block ×4, first 2 shown]
	s_waitcnt lgkmcnt(9)
	v_mul_f64 v[83:84], v[108:109], v[114:115]
	v_sub_nc_u16 v89, v85, v86
	v_lshlrev_b16 v85, 1, v89
	v_and_b32_e32 v85, 0xfe, v85
	v_lshlrev_b32_e32 v85, 4, v85
	v_fma_f64 v[79:80], v[91:92], v[81:82], v[79:80]
	v_mul_f64 v[81:82], v[110:111], v[114:115]
	v_fma_f64 v[81:82], v[108:109], v[112:113], -v[81:82]
	buffer_store_dword v112, off, s[60:63], 0 offset:560 ; 4-byte Folded Spill
	buffer_store_dword v113, off, s[60:63], 0 offset:564 ; 4-byte Folded Spill
	;; [unrolled: 1-line block ×4, first 2 shown]
	v_fma_f64 v[83:84], v[110:111], v[112:113], v[83:84]
	s_clause 0x1
	global_load_dwordx4 v[90:93], v85, s[0:1] offset:16
	global_load_dwordx4 v[108:111], v85, s[0:1]
	s_waitcnt vmcnt(0) lgkmcnt(7)
	v_mul_f64 v[85:86], v[50:51], v[110:111]
	v_fma_f64 v[85:86], v[48:49], v[108:109], -v[85:86]
	v_mul_f64 v[48:49], v[48:49], v[110:111]
	buffer_store_dword v108, off, s[60:63], 0 offset:608 ; 4-byte Folded Spill
	buffer_store_dword v109, off, s[60:63], 0 offset:612 ; 4-byte Folded Spill
	;; [unrolled: 1-line block ×4, first 2 shown]
	v_fma_f64 v[48:49], v[50:51], v[108:109], v[48:49]
	s_waitcnt lgkmcnt(6)
	v_mul_f64 v[50:51], v[46:47], v[92:93]
	v_fma_f64 v[50:51], v[44:45], v[90:91], -v[50:51]
	v_mul_f64 v[44:45], v[44:45], v[92:93]
	buffer_store_dword v90, off, s[60:63], 0 offset:592 ; 4-byte Folded Spill
	buffer_store_dword v91, off, s[60:63], 0 offset:596 ; 4-byte Folded Spill
	;; [unrolled: 1-line block ×4, first 2 shown]
	v_fma_f64 v[44:45], v[46:47], v[90:91], v[44:45]
	v_add_nc_u16 v46, v94, 0x55
	v_and_b32_e32 v47, 0xff, v46
	v_mul_lo_u16 v47, 0xf1, v47
	v_lshrrev_b16 v47, 12, v47
	v_mul_lo_u16 v47, v47, 17
	v_sub_nc_u16 v46, v46, v47
	v_lshlrev_b16 v47, 1, v46
	v_and_b32_e32 v47, 0xfe, v47
	v_lshlrev_b32_e32 v47, 4, v47
	s_clause 0x1
	global_load_dwordx4 v[108:111], v47, s[0:1] offset:16
	global_load_dwordx4 v[156:159], v47, s[0:1]
	s_waitcnt vmcnt(0) lgkmcnt(4)
	v_mul_f64 v[90:91], v[42:43], v[158:159]
	v_fma_f64 v[90:91], v[40:41], v[156:157], -v[90:91]
	v_mul_f64 v[40:41], v[40:41], v[158:159]
	v_fma_f64 v[92:93], v[42:43], v[156:157], v[40:41]
	s_waitcnt lgkmcnt(3)
	v_mul_f64 v[40:41], v[38:39], v[110:111]
	v_fma_f64 v[96:97], v[36:37], v[108:109], -v[40:41]
	v_mul_f64 v[36:37], v[36:37], v[110:111]
	buffer_store_dword v108, off, s[60:63], 0 offset:624 ; 4-byte Folded Spill
	buffer_store_dword v109, off, s[60:63], 0 offset:628 ; 4-byte Folded Spill
	;; [unrolled: 1-line block ×4, first 2 shown]
	v_add_f64 v[41:42], v[56:57], -v[58:59]
	v_fma_f64 v[108:109], v[38:39], v[108:109], v[36:37]
	v_add_nc_u16 v36, v94, 0x66
	v_add_f64 v[39:40], v[52:53], v[54:55]
	v_and_b32_e32 v37, 0xff, v36
	v_mul_lo_u16 v37, 0xf1, v37
	v_lshrrev_b16 v37, 12, v37
	v_mul_lo_u16 v37, v37, 17
	v_fma_f64 v[39:40], v[39:40], -0.5, v[20:21]
	v_sub_nc_u16 v36, v36, v37
	v_lshlrev_b16 v37, 1, v36
	v_and_b32_e32 v37, 0xfe, v37
	v_lshlrev_b32_e32 v37, 4, v37
	s_clause 0x1
	global_load_dwordx4 v[160:163], v37, s[0:1] offset:16
	global_load_dwordx4 v[164:167], v37, s[0:1]
	s_waitcnt vmcnt(0) lgkmcnt(0)
	s_waitcnt_vscnt null, 0x0
	s_barrier
	buffer_gl0_inv
	v_mul_f64 v[37:38], v[34:35], v[166:167]
	v_fma_f64 v[110:111], v[32:33], v[164:165], -v[37:38]
	v_mul_f64 v[32:33], v[32:33], v[166:167]
	v_add_f64 v[37:38], v[60:61], -v[62:63]
	v_fma_f64 v[112:113], v[34:35], v[164:165], v[32:33]
	v_mul_f64 v[32:33], v[30:31], v[162:163]
	v_add_f64 v[34:35], v[64:65], v[66:67]
	v_fma_f64 v[114:115], v[28:29], v[160:161], -v[32:33]
	v_mul_f64 v[28:29], v[28:29], v[162:163]
	v_add_f64 v[32:33], v[64:65], -v[66:67]
	v_fma_f64 v[34:35], v[34:35], -0.5, v[26:27]
	v_fma_f64 v[124:125], v[30:31], v[160:161], v[28:29]
	v_add_f64 v[30:31], v[60:61], v[62:63]
	v_add_f64 v[28:29], v[24:25], v[60:61]
	v_fma_f64 v[60:61], v[41:42], s[12:13], v[39:40]
	v_fma_f64 v[30:31], v[30:31], -0.5, v[24:25]
	v_add_f64 v[28:29], v[28:29], v[62:63]
	v_fma_f64 v[24:25], v[32:33], s[4:5], v[30:31]
	v_fma_f64 v[32:33], v[32:33], s[12:13], v[30:31]
	v_add_f64 v[30:31], v[26:27], v[64:65]
	v_fma_f64 v[26:27], v[37:38], s[12:13], v[34:35]
	v_fma_f64 v[34:35], v[37:38], s[4:5], v[34:35]
	v_add_f64 v[37:38], v[20:21], v[52:53]
	v_fma_f64 v[20:21], v[41:42], s[4:5], v[39:40]
	v_add_f64 v[41:42], v[56:57], v[58:59]
	v_add_f64 v[52:53], v[52:53], -v[54:55]
	v_add_f64 v[39:40], v[22:23], v[56:57]
	v_add_f64 v[30:31], v[30:31], v[66:67]
	v_add_f64 v[66:67], v[79:80], -v[83:84]
	v_add_f64 v[37:38], v[37:38], v[54:55]
	v_add_f64 v[54:55], v[70:71], -v[74:75]
	v_fma_f64 v[41:42], v[41:42], -0.5, v[22:23]
	v_add_f64 v[39:40], v[39:40], v[58:59]
	v_add_f64 v[58:59], v[68:69], -v[72:73]
	v_fma_f64 v[22:23], v[52:53], s[12:13], v[41:42]
	v_fma_f64 v[62:63], v[52:53], s[4:5], v[41:42]
	v_add_f64 v[41:42], v[16:17], v[68:69]
	ds_write_b128 v76, v[28:31]
	ds_write_b128 v76, v[24:27] offset:272
	ds_write_b128 v76, v[32:35] offset:544
	;; [unrolled: 1-line block ×5, first 2 shown]
	v_and_b32_e32 v20, 0xff, v87
	v_add_f64 v[52:53], v[41:42], v[72:73]
	v_add_f64 v[41:42], v[68:69], v[72:73]
	v_lshl_add_u32 v20, v20, 4, v98
	v_fma_f64 v[41:42], v[41:42], -0.5, v[16:17]
	v_fma_f64 v[16:17], v[54:55], s[4:5], v[41:42]
	v_fma_f64 v[56:57], v[54:55], s[12:13], v[41:42]
	v_add_f64 v[41:42], v[18:19], v[70:71]
	v_add_f64 v[54:55], v[41:42], v[74:75]
	;; [unrolled: 1-line block ×3, first 2 shown]
	v_add_f64 v[70:71], v[77:78], -v[81:82]
	v_add_f64 v[74:75], v[48:49], -v[44:45]
	v_fma_f64 v[41:42], v[41:42], -0.5, v[18:19]
	v_fma_f64 v[18:19], v[58:59], s[12:13], v[41:42]
	v_fma_f64 v[58:59], v[58:59], s[4:5], v[41:42]
	v_add_f64 v[41:42], v[12:13], v[77:78]
	ds_write_b128 v20, v[52:55] offset:1632
	ds_write_b128 v20, v[16:19] offset:1904
	v_and_b32_e32 v16, 0xff, v88
	buffer_store_dword v20, off, s[60:63], 0 offset:656 ; 4-byte Folded Spill
	v_add_f64 v[64:65], v[41:42], v[81:82]
	v_add_f64 v[41:42], v[77:78], v[81:82]
	v_add_f64 v[77:78], v[92:93], -v[108:109]
	v_add_f64 v[81:82], v[90:91], -v[96:97]
	v_lshl_add_u32 v16, v16, 4, v98
	ds_write_b128 v20, v[56:59] offset:2176
	v_mad_u64_u32 v[56:57], null, 0x60, v94, s[0:1]
	v_fma_f64 v[41:42], v[41:42], -0.5, v[12:13]
	v_fma_f64 v[12:13], v[66:67], s[4:5], v[41:42]
	v_fma_f64 v[68:69], v[66:67], s[12:13], v[41:42]
	v_add_f64 v[41:42], v[14:15], v[79:80]
	v_add_f64 v[66:67], v[41:42], v[83:84]
	;; [unrolled: 1-line block ×5, first 2 shown]
	v_fma_f64 v[41:42], v[41:42], -0.5, v[14:15]
	v_fma_f64 v[79:80], v[79:80], -0.5, v[6:7]
	;; [unrolled: 1-line block ×3, first 2 shown]
	v_fma_f64 v[14:15], v[70:71], s[12:13], v[41:42]
	v_fma_f64 v[70:71], v[70:71], s[4:5], v[41:42]
	v_add_f64 v[41:42], v[8:9], v[85:86]
	ds_write_b128 v16, v[64:67] offset:2448
	ds_write_b128 v16, v[12:15] offset:2720
	v_and_b32_e32 v12, 0xff, v89
	buffer_store_dword v16, off, s[60:63], 0 offset:648 ; 4-byte Folded Spill
	v_add_f64 v[72:73], v[41:42], v[50:51]
	v_add_f64 v[41:42], v[85:86], v[50:51]
	ds_write_b128 v16, v[68:71] offset:2992
	v_lshl_add_u32 v12, v12, 4, v98
	v_fma_f64 v[41:42], v[41:42], -0.5, v[8:9]
	v_fma_f64 v[8:9], v[74:75], s[4:5], v[41:42]
	v_fma_f64 v[41:42], v[74:75], s[12:13], v[41:42]
	v_add_f64 v[74:75], v[10:11], v[48:49]
	v_add_f64 v[74:75], v[74:75], v[44:45]
	;; [unrolled: 1-line block ×3, first 2 shown]
	v_add_f64 v[47:48], v[85:86], -v[50:51]
	v_add_f64 v[49:50], v[90:91], v[96:97]
	v_add_f64 v[85:86], v[112:113], -v[124:125]
	v_fma_f64 v[43:44], v[43:44], -0.5, v[10:11]
	v_fma_f64 v[49:50], v[49:50], -0.5, v[4:5]
	v_fma_f64 v[10:11], v[47:48], s[12:13], v[43:44]
	v_fma_f64 v[43:44], v[47:48], s[4:5], v[43:44]
	v_add_f64 v[47:48], v[4:5], v[90:91]
	v_fma_f64 v[4:5], v[77:78], s[4:5], v[49:50]
	v_fma_f64 v[77:78], v[77:78], s[12:13], v[49:50]
	v_add_f64 v[49:50], v[6:7], v[92:93]
	;; [unrolled: 3-line block ×4, first 2 shown]
	v_add_f64 v[83:84], v[2:3], v[112:113]
	v_add_f64 v[92:93], v[110:111], -v[114:115]
	ds_write_b128 v12, v[72:75] offset:3264
	ds_write_b128 v12, v[8:11] offset:3536
	v_and_b32_e32 v8, 0xff, v46
	buffer_store_dword v12, off, s[60:63], 0 offset:640 ; 4-byte Folded Spill
	v_add_f64 v[47:48], v[47:48], v[96:97]
	ds_write_b128 v12, v[41:44] offset:3808
	v_add_f64 v[49:50], v[49:50], v[108:109]
	v_lshl_add_u32 v155, v8, 4, v98
	ds_write_b128 v155, v[47:50] offset:4080
	ds_write_b128 v155, v[4:7] offset:4352
	;; [unrolled: 1-line block ×3, first 2 shown]
	v_fma_f64 v[85:86], v[85:86], -0.5, v[2:3]
	v_add_f64 v[81:82], v[81:82], v[114:115]
	v_add_f64 v[83:84], v[83:84], v[124:125]
	v_and_b32_e32 v4, 0xff, v36
	v_lshl_add_u32 v154, v4, 4, v98
	v_fma_f64 v[2:3], v[92:93], s[12:13], v[85:86]
	v_fma_f64 v[92:93], v[92:93], s[4:5], v[85:86]
	ds_write_b128 v154, v[81:84] offset:4896
	ds_write_b128 v154, v[0:3] offset:5168
	;; [unrolled: 1-line block ×3, first 2 shown]
	s_waitcnt lgkmcnt(0)
	s_waitcnt_vscnt null, 0x0
	s_barrier
	buffer_gl0_inv
	ds_read_b128 v[8:11], v76
	ds_read_b128 v[200:203], v76 offset:816
	ds_read_b128 v[188:191], v76 offset:1632
	;; [unrolled: 1-line block ×20, first 2 shown]
	s_clause 0x3
	global_load_dwordx4 v[168:171], v[56:57], off offset:592
	global_load_dwordx4 v[172:175], v[56:57], off offset:576
	;; [unrolled: 1-line block ×4, first 2 shown]
	s_mov_b32 s12, 0x37e14327
	s_mov_b32 s4, 0x36b3c0b5
	;; [unrolled: 1-line block ×4, first 2 shown]
	s_waitcnt vmcnt(0) lgkmcnt(19)
	v_mul_f64 v[58:59], v[202:203], v[182:183]
	v_fma_f64 v[89:90], v[200:201], v[180:181], -v[58:59]
	v_mul_f64 v[58:59], v[200:201], v[182:183]
	v_fma_f64 v[91:92], v[202:203], v[180:181], v[58:59]
	s_waitcnt lgkmcnt(18)
	v_mul_f64 v[58:59], v[190:191], v[178:179]
	v_fma_f64 v[93:94], v[188:189], v[176:177], -v[58:59]
	v_mul_f64 v[58:59], v[188:189], v[178:179]
	v_fma_f64 v[96:97], v[190:191], v[176:177], v[58:59]
	s_waitcnt lgkmcnt(17)
	;; [unrolled: 5-line block ×3, first 2 shown]
	v_mul_f64 v[52:53], v[186:187], v[170:171]
	v_fma_f64 v[112:113], v[184:185], v[168:169], -v[52:53]
	v_mul_f64 v[52:53], v[184:185], v[170:171]
	v_fma_f64 v[114:115], v[186:187], v[168:169], v[52:53]
	s_clause 0x1
	global_load_dwordx4 v[184:187], v[56:57], off offset:624
	global_load_dwordx4 v[188:191], v[56:57], off offset:608
	s_waitcnt vmcnt(0) lgkmcnt(15)
	v_mul_f64 v[52:53], v[198:199], v[190:191]
	v_fma_f64 v[124:125], v[196:197], v[188:189], -v[52:53]
	v_mul_f64 v[52:53], v[196:197], v[190:191]
	v_fma_f64 v[126:127], v[198:199], v[188:189], v[52:53]
	s_waitcnt lgkmcnt(14)
	v_mul_f64 v[52:53], v[194:195], v[186:187]
	v_fma_f64 v[240:241], v[192:193], v[184:185], -v[52:53]
	v_mul_f64 v[52:53], v[192:193], v[186:187]
	v_fma_f64 v[242:243], v[194:195], v[184:185], v[52:53]
	v_add_co_u32 v52, s0, 0x660, v56
	v_add_co_ci_u32_e64 v53, s0, 0, v57, s0
	s_clause 0x3
	global_load_dwordx4 v[192:195], v[52:53], off offset:592
	global_load_dwordx4 v[196:199], v[52:53], off offset:576
	;; [unrolled: 1-line block ×4, first 2 shown]
	s_waitcnt vmcnt(0) lgkmcnt(12)
	v_mul_f64 v[54:55], v[214:215], v[206:207]
	v_fma_f64 v[72:73], v[212:213], v[204:205], -v[54:55]
	v_mul_f64 v[54:55], v[212:213], v[206:207]
	v_fma_f64 v[74:75], v[214:215], v[204:205], v[54:55]
	s_waitcnt lgkmcnt(11)
	v_mul_f64 v[54:55], v[210:211], v[202:203]
	v_fma_f64 v[66:67], v[208:209], v[200:201], -v[54:55]
	v_mul_f64 v[54:55], v[208:209], v[202:203]
	v_fma_f64 v[70:71], v[210:211], v[200:201], v[54:55]
	s_clause 0x1
	global_load_dwordx4 v[208:211], v[52:53], off offset:624
	global_load_dwordx4 v[212:215], v[52:53], off offset:608
	s_waitcnt lgkmcnt(10)
	v_mul_f64 v[54:55], v[50:51], v[198:199]
	v_fma_f64 v[64:65], v[48:49], v[196:197], -v[54:55]
	v_mul_f64 v[48:49], v[48:49], v[198:199]
	v_fma_f64 v[68:69], v[50:51], v[196:197], v[48:49]
	s_waitcnt lgkmcnt(9)
	v_mul_f64 v[48:49], v[46:47], v[194:195]
	v_fma_f64 v[77:78], v[44:45], v[192:193], -v[48:49]
	v_mul_f64 v[44:45], v[44:45], v[194:195]
	v_fma_f64 v[79:80], v[46:47], v[192:193], v[44:45]
	s_waitcnt vmcnt(0) lgkmcnt(8)
	v_mul_f64 v[44:45], v[42:43], v[214:215]
	v_fma_f64 v[81:82], v[40:41], v[212:213], -v[44:45]
	v_mul_f64 v[40:41], v[40:41], v[214:215]
	v_fma_f64 v[83:84], v[42:43], v[212:213], v[40:41]
	s_waitcnt lgkmcnt(7)
	v_mul_f64 v[40:41], v[38:39], v[210:211]
	v_fma_f64 v[85:86], v[36:37], v[208:209], -v[40:41]
	v_mul_f64 v[36:37], v[36:37], v[210:211]
	v_fma_f64 v[87:88], v[38:39], v[208:209], v[36:37]
	v_add_co_u32 v36, s0, 0xcc0, v56
	v_add_co_ci_u32_e64 v37, s0, 0, v57, s0
	s_clause 0x5
	global_load_dwordx4 v[216:219], v[36:37], off offset:592
	global_load_dwordx4 v[220:223], v[36:37], off offset:576
	;; [unrolled: 1-line block ×6, first 2 shown]
	s_mov_b32 s0, 0x429ad128
	s_mov_b32 s1, 0x3febfeb5
	s_waitcnt vmcnt(2) lgkmcnt(5)
	v_mul_f64 v[38:39], v[34:35], v[230:231]
	v_fma_f64 v[48:49], v[32:33], v[228:229], -v[38:39]
	v_mul_f64 v[32:33], v[32:33], v[230:231]
	v_fma_f64 v[50:51], v[34:35], v[228:229], v[32:33]
	s_waitcnt lgkmcnt(4)
	v_mul_f64 v[32:33], v[30:31], v[226:227]
	v_add_f64 v[34:35], v[114:115], -v[110:111]
	v_fma_f64 v[44:45], v[28:29], v[224:225], -v[32:33]
	v_mul_f64 v[28:29], v[28:29], v[226:227]
	v_add_f64 v[32:33], v[112:113], -v[108:109]
	v_fma_f64 v[46:47], v[30:31], v[224:225], v[28:29]
	s_waitcnt lgkmcnt(3)
	v_mul_f64 v[28:29], v[26:27], v[222:223]
	v_add_f64 v[30:31], v[110:111], v[114:115]
	v_fma_f64 v[40:41], v[24:25], v[220:221], -v[28:29]
	v_mul_f64 v[24:25], v[24:25], v[222:223]
	v_add_f64 v[28:29], v[108:109], v[112:113]
	v_fma_f64 v[42:43], v[26:27], v[220:221], v[24:25]
	s_waitcnt lgkmcnt(2)
	v_mul_f64 v[24:25], v[22:23], v[218:219]
	v_add_f64 v[26:27], v[96:97], -v[126:127]
	v_fma_f64 v[52:53], v[20:21], v[216:217], -v[24:25]
	v_mul_f64 v[20:21], v[20:21], v[218:219]
	v_add_f64 v[24:25], v[93:94], -v[124:125]
	v_add_f64 v[110:111], v[34:35], -v[26:27]
	v_fma_f64 v[54:55], v[22:23], v[216:217], v[20:21]
	s_waitcnt vmcnt(0) lgkmcnt(1)
	v_mul_f64 v[20:21], v[18:19], v[238:239]
	v_add_f64 v[22:23], v[96:97], v[126:127]
	v_add_f64 v[108:109], v[32:33], -v[24:25]
	v_fma_f64 v[56:57], v[16:17], v[236:237], -v[20:21]
	v_mul_f64 v[16:17], v[16:17], v[238:239]
	v_add_f64 v[20:21], v[93:94], v[124:125]
	v_fma_f64 v[58:59], v[18:19], v[236:237], v[16:17]
	s_waitcnt lgkmcnt(0)
	v_mul_f64 v[16:17], v[14:15], v[234:235]
	v_add_f64 v[18:19], v[91:92], -v[242:243]
	v_fma_f64 v[60:61], v[12:13], v[232:233], -v[16:17]
	v_mul_f64 v[12:13], v[12:13], v[234:235]
	v_add_f64 v[16:17], v[89:90], -v[240:241]
	v_fma_f64 v[62:63], v[14:15], v[232:233], v[12:13]
	v_add_f64 v[12:13], v[89:90], v[240:241]
	v_add_f64 v[14:15], v[91:92], v[242:243]
	;; [unrolled: 1-line block ×4, first 2 shown]
	v_add_f64 v[89:90], v[20:21], -v[12:13]
	v_add_f64 v[91:92], v[22:23], -v[14:15]
	;; [unrolled: 1-line block ×6, first 2 shown]
	v_add_f64 v[12:13], v[32:33], v[24:25]
	v_add_f64 v[14:15], v[34:35], v[26:27]
	v_add_f64 v[24:25], v[24:25], -v[16:17]
	v_add_f64 v[26:27], v[26:27], -v[18:19]
	;; [unrolled: 1-line block ×4, first 2 shown]
	v_add_f64 v[28:29], v[28:29], v[36:37]
	v_add_f64 v[30:31], v[30:31], v[38:39]
	v_mul_f64 v[36:37], v[20:21], s[4:5]
	v_mul_f64 v[38:39], v[22:23], s[4:5]
	v_add_f64 v[16:17], v[12:13], v[16:17]
	v_add_f64 v[18:19], v[14:15], v[18:19]
	;; [unrolled: 1-line block ×4, first 2 shown]
	v_mul_f64 v[8:9], v[93:94], s[12:13]
	v_mul_f64 v[10:11], v[96:97], s[12:13]
	v_mul_f64 v[93:94], v[108:109], s[16:17]
	v_mul_f64 v[96:97], v[110:111], s[16:17]
	v_mul_f64 v[108:109], v[24:25], s[0:1]
	v_mul_f64 v[110:111], v[26:27], s[0:1]
	v_fma_f64 v[36:37], v[89:90], s[20:21], -v[36:37]
	v_fma_f64 v[38:39], v[91:92], s[20:21], -v[38:39]
	v_fma_f64 v[28:29], v[28:29], s[18:19], v[12:13]
	v_fma_f64 v[30:31], v[30:31], s[18:19], v[14:15]
	;; [unrolled: 1-line block ×4, first 2 shown]
	v_fma_f64 v[8:9], v[89:90], s[22:23], -v[8:9]
	v_fma_f64 v[10:11], v[91:92], s[22:23], -v[10:11]
	v_fma_f64 v[89:90], v[32:33], s[26:27], v[93:94]
	v_fma_f64 v[91:92], v[34:35], s[26:27], v[96:97]
	v_fma_f64 v[32:33], v[32:33], s[28:29], -v[108:109]
	v_fma_f64 v[34:35], v[34:35], s[28:29], -v[110:111]
	;; [unrolled: 1-line block ×4, first 2 shown]
	v_add_f64 v[36:37], v[36:37], v[28:29]
	v_add_f64 v[38:39], v[38:39], v[30:31]
	v_add_f64 v[93:94], v[20:21], v[28:29]
	v_add_f64 v[96:97], v[22:23], v[30:31]
	v_add_f64 v[8:9], v[8:9], v[28:29]
	v_add_f64 v[10:11], v[10:11], v[30:31]
	v_fma_f64 v[89:90], v[16:17], s[24:25], v[89:90]
	v_fma_f64 v[91:92], v[18:19], s[24:25], v[91:92]
	;; [unrolled: 1-line block ×6, first 2 shown]
	v_add_f64 v[18:19], v[96:97], -v[89:90]
	v_add_f64 v[16:17], v[91:92], v[93:94]
	v_add_f64 v[22:23], v[10:11], -v[108:109]
	v_add_f64 v[20:21], v[32:33], v[8:9]
	;; [unrolled: 2-line block ×3, first 2 shown]
	v_add_f64 v[8:9], v[72:73], v[85:86]
	v_add_f64 v[10:11], v[74:75], v[87:88]
	v_add_f64 v[72:73], v[72:73], -v[85:86]
	v_add_f64 v[74:75], v[74:75], -v[87:88]
	v_add_f64 v[85:86], v[66:67], v[81:82]
	v_add_f64 v[87:88], v[70:71], v[83:84]
	v_add_f64 v[66:67], v[66:67], -v[81:82]
	v_add_f64 v[70:71], v[70:71], -v[83:84]
	;; [unrolled: 4-line block ×3, first 2 shown]
	v_add_f64 v[24:25], v[36:37], -v[28:29]
	v_add_f64 v[26:27], v[30:31], v[38:39]
	v_add_f64 v[28:29], v[28:29], v[36:37]
	v_add_f64 v[30:31], v[38:39], -v[30:31]
	v_add_f64 v[36:37], v[93:94], -v[91:92]
	v_add_f64 v[38:39], v[89:90], v[96:97]
	v_add_f64 v[77:78], v[85:86], v[8:9]
	;; [unrolled: 1-line block ×3, first 2 shown]
	v_add_f64 v[89:90], v[85:86], -v[8:9]
	v_add_f64 v[91:92], v[87:88], -v[10:11]
	;; [unrolled: 1-line block ×6, first 2 shown]
	v_add_f64 v[93:94], v[64:65], v[66:67]
	v_add_f64 v[96:97], v[68:69], v[70:71]
	v_add_f64 v[108:109], v[64:65], -v[66:67]
	v_add_f64 v[110:111], v[68:69], -v[70:71]
	v_add_f64 v[114:115], v[66:67], -v[72:73]
	v_add_f64 v[70:71], v[70:71], -v[74:75]
	v_add_f64 v[112:113], v[72:73], -v[64:65]
	v_add_f64 v[68:69], v[74:75], -v[68:69]
	v_add_f64 v[77:78], v[81:82], v[77:78]
	v_add_f64 v[79:80], v[83:84], v[79:80]
	v_add_f64 v[72:73], v[93:94], v[72:73]
	v_add_f64 v[74:75], v[96:97], v[74:75]
	v_mul_f64 v[81:82], v[108:109], s[16:17]
	v_mul_f64 v[83:84], v[110:111], s[16:17]
	;; [unrolled: 1-line block ×4, first 2 shown]
	v_add_f64 v[64:65], v[4:5], v[77:78]
	v_add_f64 v[66:67], v[6:7], v[79:80]
	v_mul_f64 v[4:5], v[8:9], s[12:13]
	v_mul_f64 v[6:7], v[10:11], s[12:13]
	;; [unrolled: 1-line block ×4, first 2 shown]
	ds_write_b128 v76, v[12:15]
	ds_write_b128 v76, v[16:19] offset:816
	ds_write_b128 v76, v[20:23] offset:1632
	ds_write_b128 v76, v[24:27] offset:2448
	ds_write_b128 v76, v[28:31] offset:3264
	ds_write_b128 v76, v[32:35] offset:4080
	ds_write_b128 v76, v[36:39] offset:4896
	ds_write_b128 v76, v[64:67] offset:272
	v_fma_f64 v[70:71], v[70:71], s[0:1], -v[83:84]
	v_fma_f64 v[77:78], v[77:78], s[18:19], v[64:65]
	v_fma_f64 v[79:80], v[79:80], s[18:19], v[66:67]
	;; [unrolled: 1-line block ×4, first 2 shown]
	v_fma_f64 v[8:9], v[89:90], s[20:21], -v[8:9]
	v_fma_f64 v[10:11], v[91:92], s[20:21], -v[10:11]
	v_fma_f64 v[4:5], v[89:90], s[22:23], -v[4:5]
	v_fma_f64 v[6:7], v[91:92], s[22:23], -v[6:7]
	v_fma_f64 v[89:90], v[112:113], s[26:27], v[81:82]
	v_fma_f64 v[91:92], v[68:69], s[26:27], v[83:84]
	v_fma_f64 v[81:82], v[114:115], s[0:1], -v[81:82]
	v_fma_f64 v[83:84], v[112:113], s[28:29], -v[93:94]
	;; [unrolled: 1-line block ×3, first 2 shown]
	v_add_f64 v[93:94], v[85:86], v[77:78]
	v_add_f64 v[96:97], v[87:88], v[79:80]
	v_add_f64 v[8:9], v[8:9], v[77:78]
	v_add_f64 v[10:11], v[10:11], v[79:80]
	v_add_f64 v[4:5], v[4:5], v[77:78]
	v_add_f64 v[6:7], v[6:7], v[79:80]
	v_fma_f64 v[110:111], v[72:73], s[24:25], v[89:90]
	v_fma_f64 v[108:109], v[74:75], s[24:25], v[91:92]
	v_fma_f64 v[87:88], v[72:73], s[24:25], v[81:82]
	v_fma_f64 v[85:86], v[74:75], s[24:25], v[70:71]
	v_fma_f64 v[72:73], v[72:73], s[24:25], v[83:84]
	v_fma_f64 v[74:75], v[74:75], s[24:25], v[68:69]
	v_add_f64 v[70:71], v[96:97], -v[110:111]
	v_add_f64 v[68:69], v[108:109], v[93:94]
	v_add_f64 v[83:84], v[87:88], v[10:11]
	v_add_f64 v[81:82], v[8:9], -v[85:86]
	v_add_f64 v[79:80], v[6:7], -v[72:73]
	v_add_f64 v[77:78], v[74:75], v[4:5]
	v_add_f64 v[85:86], v[85:86], v[8:9]
	v_add_f64 v[87:88], v[10:11], -v[87:88]
	v_add_f64 v[89:90], v[4:5], -v[74:75]
	v_add_f64 v[91:92], v[72:73], v[6:7]
	v_add_f64 v[4:5], v[48:49], v[60:61]
	;; [unrolled: 1-line block ×3, first 2 shown]
	v_add_f64 v[8:9], v[48:49], -v[60:61]
	v_add_f64 v[10:11], v[50:51], -v[62:63]
	v_add_f64 v[48:49], v[44:45], v[56:57]
	v_add_f64 v[50:51], v[46:47], v[58:59]
	v_add_f64 v[44:45], v[44:45], -v[56:57]
	v_add_f64 v[46:47], v[46:47], -v[58:59]
	v_add_f64 v[56:57], v[40:41], v[52:53]
	v_add_f64 v[58:59], v[42:43], v[54:55]
	v_add_f64 v[40:41], v[52:53], -v[40:41]
	v_add_f64 v[42:43], v[54:55], -v[42:43]
	;; [unrolled: 1-line block ×3, first 2 shown]
	v_add_f64 v[110:111], v[110:111], v[96:97]
	v_add_f64 v[52:53], v[48:49], v[4:5]
	;; [unrolled: 1-line block ×3, first 2 shown]
	v_add_f64 v[60:61], v[48:49], -v[4:5]
	v_add_f64 v[62:63], v[50:51], -v[6:7]
	;; [unrolled: 1-line block ×6, first 2 shown]
	v_add_f64 v[72:73], v[40:41], v[44:45]
	v_add_f64 v[74:75], v[42:43], v[46:47]
	v_add_f64 v[93:94], v[40:41], -v[44:45]
	v_add_f64 v[96:97], v[42:43], -v[46:47]
	;; [unrolled: 1-line block ×6, first 2 shown]
	v_add_f64 v[52:53], v[56:57], v[52:53]
	v_add_f64 v[54:55], v[58:59], v[54:55]
	;; [unrolled: 1-line block ×4, first 2 shown]
	v_mul_f64 v[72:73], v[93:94], s[16:17]
	v_mul_f64 v[74:75], v[96:97], s[16:17]
	;; [unrolled: 1-line block ×4, first 2 shown]
	v_add_f64 v[8:9], v[0:1], v[52:53]
	v_add_f64 v[10:11], v[2:3], v[54:55]
	v_mul_f64 v[0:1], v[4:5], s[12:13]
	v_mul_f64 v[2:3], v[6:7], s[12:13]
	;; [unrolled: 1-line block ×4, first 2 shown]
	v_fma_f64 v[44:45], v[44:45], s[0:1], -v[72:73]
	v_fma_f64 v[46:47], v[46:47], s[0:1], -v[74:75]
	v_fma_f64 v[52:53], v[52:53], s[18:19], v[8:9]
	v_fma_f64 v[54:55], v[54:55], s[18:19], v[10:11]
	;; [unrolled: 1-line block ×4, first 2 shown]
	v_fma_f64 v[4:5], v[60:61], s[20:21], -v[4:5]
	v_fma_f64 v[6:7], v[62:63], s[20:21], -v[6:7]
	;; [unrolled: 1-line block ×4, first 2 shown]
	v_fma_f64 v[60:61], v[40:41], s[26:27], v[72:73]
	v_fma_f64 v[62:63], v[42:43], s[26:27], v[74:75]
	v_fma_f64 v[40:41], v[40:41], s[28:29], -v[93:94]
	v_fma_f64 v[42:43], v[42:43], s[28:29], -v[96:97]
	v_fma_f64 v[44:45], v[56:57], s[24:25], v[44:45]
	v_fma_f64 v[46:47], v[58:59], s[24:25], v[46:47]
	v_add_f64 v[48:49], v[48:49], v[52:53]
	v_add_f64 v[50:51], v[50:51], v[54:55]
	;; [unrolled: 1-line block ×6, first 2 shown]
	v_fma_f64 v[60:61], v[56:57], s[24:25], v[60:61]
	v_fma_f64 v[62:63], v[58:59], s[24:25], v[62:63]
	;; [unrolled: 1-line block ×4, first 2 shown]
	v_add_f64 v[240:241], v[72:73], -v[46:47]
	v_add_f64 v[242:243], v[44:45], v[74:75]
	v_add_f64 v[244:245], v[46:47], v[72:73]
	v_add_f64 v[246:247], v[74:75], -v[44:45]
	v_add_f64 v[6:7], v[50:51], -v[60:61]
	v_add_f64 v[4:5], v[62:63], v[48:49]
	v_add_f64 v[2:3], v[54:55], -v[40:41]
	v_add_f64 v[0:1], v[42:43], v[52:53]
	v_add_f64 v[248:249], v[52:53], -v[42:43]
	v_add_f64 v[250:251], v[40:41], v[54:55]
	v_add_f64 v[252:253], v[48:49], -v[62:63]
	v_add_f64 v[254:255], v[60:61], v[50:51]
	v_lshl_add_u32 v72, v136, 4, v95
	ds_write_b128 v72, v[68:71] offset:1088
	ds_write_b128 v72, v[77:80] offset:1904
	;; [unrolled: 1-line block ×13, first 2 shown]
	s_waitcnt lgkmcnt(0)
	s_barrier
	buffer_gl0_inv
	global_load_dwordx4 v[6:9], v95, s[2:3]
	ds_read_b128 v[2:5], v76
	v_add_co_u32 v0, s0, s2, v95
	v_add_co_ci_u32_e64 v1, null, s3, 0, s0
	s_waitcnt vmcnt(0) lgkmcnt(0)
	v_mul_f64 v[10:11], v[4:5], v[8:9]
	v_fma_f64 v[10:11], v[2:3], v[6:7], -v[10:11]
	v_mul_f64 v[2:3], v[2:3], v[8:9]
	v_fma_f64 v[12:13], v[4:5], v[6:7], v[2:3]
	global_load_dwordx4 v[6:9], v95, s[2:3] offset:336
	ds_read_b128 v[2:5], v76 offset:336
	ds_write_b128 v76, v[10:13]
	s_waitcnt vmcnt(0) lgkmcnt(1)
	v_mul_f64 v[10:11], v[4:5], v[8:9]
	v_fma_f64 v[10:11], v[2:3], v[6:7], -v[10:11]
	v_mul_f64 v[2:3], v[2:3], v[8:9]
	v_fma_f64 v[12:13], v[4:5], v[6:7], v[2:3]
	global_load_dwordx4 v[6:9], v95, s[2:3] offset:672
	ds_read_b128 v[2:5], v76 offset:672
	ds_write_b128 v76, v[10:13] offset:336
	s_waitcnt vmcnt(0) lgkmcnt(1)
	v_mul_f64 v[10:11], v[4:5], v[8:9]
	v_fma_f64 v[10:11], v[2:3], v[6:7], -v[10:11]
	v_mul_f64 v[2:3], v[2:3], v[8:9]
	v_fma_f64 v[12:13], v[4:5], v[6:7], v[2:3]
	global_load_dwordx4 v[6:9], v95, s[2:3] offset:1008
	ds_read_b128 v[2:5], v76 offset:1008
	ds_write_b128 v76, v[10:13] offset:672
	;; [unrolled: 8-line block ×5, first 2 shown]
	s_waitcnt vmcnt(0) lgkmcnt(1)
	v_mul_f64 v[10:11], v[4:5], v[8:9]
	v_fma_f64 v[10:11], v[2:3], v[6:7], -v[10:11]
	v_mul_f64 v[2:3], v[2:3], v[8:9]
	v_fma_f64 v[12:13], v[4:5], v[6:7], v[2:3]
	v_add_co_u32 v4, s0, 0x800, v0
	v_add_co_ci_u32_e64 v5, s0, 0, v1, s0
	ds_read_b128 v[6:9], v76 offset:2352
	ds_write_b128 v76, v[10:13] offset:2016
	global_load_dwordx4 v[10:13], v[4:5], off offset:304
	s_waitcnt vmcnt(0) lgkmcnt(1)
	v_mul_f64 v[2:3], v[8:9], v[12:13]
	v_fma_f64 v[14:15], v[6:7], v[10:11], -v[2:3]
	v_mul_f64 v[2:3], v[6:7], v[12:13]
	v_fma_f64 v[16:17], v[8:9], v[10:11], v[2:3]
	global_load_dwordx4 v[10:13], v[4:5], off offset:640
	ds_read_b128 v[6:9], v76 offset:2688
	ds_write_b128 v76, v[14:17] offset:2352
	s_waitcnt vmcnt(0) lgkmcnt(1)
	v_mul_f64 v[2:3], v[8:9], v[12:13]
	v_fma_f64 v[14:15], v[6:7], v[10:11], -v[2:3]
	v_mul_f64 v[2:3], v[6:7], v[12:13]
	v_fma_f64 v[16:17], v[8:9], v[10:11], v[2:3]
	global_load_dwordx4 v[10:13], v[4:5], off offset:976
	ds_read_b128 v[6:9], v76 offset:3024
	ds_write_b128 v76, v[14:17] offset:2688
	;; [unrolled: 8-line block ×5, first 2 shown]
	s_waitcnt vmcnt(0) lgkmcnt(1)
	v_mul_f64 v[2:3], v[8:9], v[12:13]
	v_fma_f64 v[14:15], v[6:7], v[10:11], -v[2:3]
	v_mul_f64 v[2:3], v[6:7], v[12:13]
	v_fma_f64 v[16:17], v[8:9], v[10:11], v[2:3]
	v_add_co_u32 v2, s0, 0x1000, v0
	v_add_co_ci_u32_e64 v3, s0, 0, v1, s0
	ds_read_b128 v[6:9], v76 offset:4368
	global_load_dwordx4 v[10:13], v[2:3], off offset:272
	ds_write_b128 v76, v[14:17] offset:4032
	s_waitcnt vmcnt(0) lgkmcnt(1)
	v_mul_f64 v[14:15], v[8:9], v[12:13]
	v_fma_f64 v[14:15], v[6:7], v[10:11], -v[14:15]
	v_mul_f64 v[6:7], v[6:7], v[12:13]
	v_fma_f64 v[16:17], v[8:9], v[10:11], v[6:7]
	global_load_dwordx4 v[10:13], v[2:3], off offset:608
	ds_read_b128 v[6:9], v76 offset:4704
	ds_write_b128 v76, v[14:17] offset:4368
	s_waitcnt vmcnt(0) lgkmcnt(1)
	v_mul_f64 v[14:15], v[8:9], v[12:13]
	v_fma_f64 v[14:15], v[6:7], v[10:11], -v[14:15]
	v_mul_f64 v[6:7], v[6:7], v[12:13]
	v_fma_f64 v[16:17], v[8:9], v[10:11], v[6:7]
	global_load_dwordx4 v[10:13], v[2:3], off offset:944
	ds_read_b128 v[6:9], v76 offset:5040
	;; [unrolled: 8-line block ×3, first 2 shown]
	ds_write_b128 v76, v[14:17] offset:5040
	s_waitcnt vmcnt(0) lgkmcnt(1)
	v_mul_f64 v[14:15], v[8:9], v[12:13]
	v_fma_f64 v[14:15], v[6:7], v[10:11], -v[14:15]
	v_mul_f64 v[6:7], v[6:7], v[12:13]
	v_fma_f64 v[16:17], v[8:9], v[10:11], v[6:7]
	ds_write_b128 v76, v[14:17] offset:5376
	s_and_saveexec_b32 s0, vcc_lo
	s_cbranch_execz .LBB0_9
; %bb.8:
	global_load_dwordx4 v[10:13], v[0:1], off offset:272
	ds_read_b128 v[6:9], v76 offset:272
	s_waitcnt vmcnt(0) lgkmcnt(0)
	v_mul_f64 v[14:15], v[8:9], v[12:13]
	v_fma_f64 v[14:15], v[6:7], v[10:11], -v[14:15]
	v_mul_f64 v[6:7], v[6:7], v[12:13]
	v_fma_f64 v[16:17], v[8:9], v[10:11], v[6:7]
	global_load_dwordx4 v[10:13], v[0:1], off offset:608
	ds_read_b128 v[6:9], v76 offset:608
	ds_write_b128 v76, v[14:17] offset:272
	s_waitcnt vmcnt(0) lgkmcnt(1)
	v_mul_f64 v[14:15], v[8:9], v[12:13]
	v_fma_f64 v[14:15], v[6:7], v[10:11], -v[14:15]
	v_mul_f64 v[6:7], v[6:7], v[12:13]
	v_fma_f64 v[16:17], v[8:9], v[10:11], v[6:7]
	global_load_dwordx4 v[10:13], v[0:1], off offset:944
	ds_read_b128 v[6:9], v76 offset:944
	ds_write_b128 v76, v[14:17] offset:608
	;; [unrolled: 8-line block ×6, first 2 shown]
	s_waitcnt vmcnt(0) lgkmcnt(1)
	v_mul_f64 v[0:1], v[8:9], v[12:13]
	v_fma_f64 v[14:15], v[6:7], v[10:11], -v[0:1]
	v_mul_f64 v[0:1], v[6:7], v[12:13]
	v_fma_f64 v[16:17], v[8:9], v[10:11], v[0:1]
	v_or_b32_e32 v0, 0xa40, v95
	ds_read_b128 v[6:9], v76 offset:2624
	global_load_dwordx4 v[10:13], v0, s[2:3]
	ds_write_b128 v76, v[14:17] offset:2288
	s_waitcnt vmcnt(0) lgkmcnt(1)
	v_mul_f64 v[0:1], v[8:9], v[12:13]
	v_fma_f64 v[14:15], v[6:7], v[10:11], -v[0:1]
	v_mul_f64 v[0:1], v[6:7], v[12:13]
	v_fma_f64 v[16:17], v[8:9], v[10:11], v[0:1]
	global_load_dwordx4 v[10:13], v[4:5], off offset:912
	ds_read_b128 v[6:9], v76 offset:2960
	ds_write_b128 v76, v[14:17] offset:2624
	s_waitcnt vmcnt(0) lgkmcnt(1)
	v_mul_f64 v[0:1], v[8:9], v[12:13]
	v_fma_f64 v[14:15], v[6:7], v[10:11], -v[0:1]
	v_mul_f64 v[0:1], v[6:7], v[12:13]
	v_fma_f64 v[16:17], v[8:9], v[10:11], v[0:1]
	global_load_dwordx4 v[10:13], v[4:5], off offset:1248
	ds_read_b128 v[6:9], v76 offset:3296
	;; [unrolled: 8-line block ×3, first 2 shown]
	ds_write_b128 v76, v[14:17] offset:3296
	s_waitcnt vmcnt(0) lgkmcnt(1)
	v_mul_f64 v[0:1], v[8:9], v[12:13]
	v_fma_f64 v[4:5], v[6:7], v[10:11], -v[0:1]
	v_mul_f64 v[0:1], v[6:7], v[12:13]
	v_fma_f64 v[6:7], v[8:9], v[10:11], v[0:1]
	v_or_b32_e32 v0, 0xf80, v95
	global_load_dwordx4 v[8:11], v0, s[2:3]
	ds_write_b128 v76, v[4:7] offset:3632
	ds_read_b128 v[4:7], v76 offset:3968
	s_waitcnt vmcnt(0) lgkmcnt(0)
	v_mul_f64 v[0:1], v[6:7], v[10:11]
	v_fma_f64 v[12:13], v[4:5], v[8:9], -v[0:1]
	v_mul_f64 v[0:1], v[4:5], v[10:11]
	v_fma_f64 v[14:15], v[6:7], v[8:9], v[0:1]
	global_load_dwordx4 v[8:11], v[2:3], off offset:208
	ds_read_b128 v[4:7], v76 offset:4304
	ds_write_b128 v76, v[12:15] offset:3968
	s_waitcnt vmcnt(0) lgkmcnt(1)
	v_mul_f64 v[0:1], v[6:7], v[10:11]
	v_fma_f64 v[12:13], v[4:5], v[8:9], -v[0:1]
	v_mul_f64 v[0:1], v[4:5], v[10:11]
	v_fma_f64 v[14:15], v[6:7], v[8:9], v[0:1]
	global_load_dwordx4 v[8:11], v[2:3], off offset:544
	ds_read_b128 v[4:7], v76 offset:4640
	ds_write_b128 v76, v[12:15] offset:4304
	;; [unrolled: 8-line block ×3, first 2 shown]
	s_waitcnt vmcnt(0) lgkmcnt(1)
	v_mul_f64 v[0:1], v[6:7], v[10:11]
	v_fma_f64 v[12:13], v[4:5], v[8:9], -v[0:1]
	v_mul_f64 v[0:1], v[4:5], v[10:11]
	v_fma_f64 v[14:15], v[6:7], v[8:9], v[0:1]
	v_or_b32_e32 v0, 0x14c0, v95
	ds_read_b128 v[4:7], v76 offset:5312
	global_load_dwordx4 v[8:11], v0, s[2:3]
	ds_write_b128 v76, v[12:15] offset:4976
	s_waitcnt vmcnt(0) lgkmcnt(1)
	v_mul_f64 v[0:1], v[6:7], v[10:11]
	v_fma_f64 v[12:13], v[4:5], v[8:9], -v[0:1]
	v_mul_f64 v[0:1], v[4:5], v[10:11]
	v_fma_f64 v[14:15], v[6:7], v[8:9], v[0:1]
	global_load_dwordx4 v[0:3], v[2:3], off offset:1552
	ds_read_b128 v[4:7], v76 offset:5648
	ds_write_b128 v76, v[12:15] offset:5312
	s_waitcnt vmcnt(0) lgkmcnt(1)
	v_mul_f64 v[8:9], v[6:7], v[2:3]
	v_mul_f64 v[2:3], v[4:5], v[2:3]
	v_fma_f64 v[8:9], v[4:5], v[0:1], -v[8:9]
	v_fma_f64 v[10:11], v[6:7], v[0:1], v[2:3]
	ds_write_b128 v76, v[8:11] offset:5648
.LBB0_9:
	s_or_b32 exec_lo, exec_lo, s0
	s_waitcnt lgkmcnt(0)
	s_barrier
	buffer_gl0_inv
	ds_read_b128 v[60:63], v76
	ds_read_b128 v[64:67], v76 offset:336
	ds_read_b128 v[52:55], v76 offset:672
	;; [unrolled: 1-line block ×16, first 2 shown]
	s_and_saveexec_b32 s0, vcc_lo
	s_cbranch_execz .LBB0_11
; %bb.10:
	s_clause 0x1
	buffer_load_dword v0, off, s[60:63], 0
	buffer_load_dword v1, off, s[60:63], 0 offset:520
	s_waitcnt vmcnt(0)
	v_lshl_add_u32 v0, v0, 4, v1
	ds_read_b128 v[240:243], v76 offset:272
	ds_read_b128 v[244:247], v0 offset:608
	ds_read_b128 v[248:251], v0 offset:944
	ds_read_b128 v[252:255], v0 offset:1280
	ds_read_b128 v[77:80], v0 offset:1616
	s_waitcnt lgkmcnt(0)
	buffer_store_dword v77, off, s[60:63], 0 offset:52 ; 4-byte Folded Spill
	buffer_store_dword v78, off, s[60:63], 0 offset:56 ; 4-byte Folded Spill
	buffer_store_dword v79, off, s[60:63], 0 offset:60 ; 4-byte Folded Spill
	buffer_store_dword v80, off, s[60:63], 0 offset:64 ; 4-byte Folded Spill
	ds_read_b128 v[77:80], v0 offset:1952
	s_waitcnt lgkmcnt(0)
	buffer_store_dword v77, off, s[60:63], 0 offset:84 ; 4-byte Folded Spill
	buffer_store_dword v78, off, s[60:63], 0 offset:88 ; 4-byte Folded Spill
	buffer_store_dword v79, off, s[60:63], 0 offset:92 ; 4-byte Folded Spill
	buffer_store_dword v80, off, s[60:63], 0 offset:96 ; 4-byte Folded Spill
	ds_read_b128 v[77:80], v0 offset:2288
	;; [unrolled: 6-line block ×12, first 2 shown]
	s_waitcnt lgkmcnt(0)
	buffer_store_dword v0, off, s[60:63], 0 offset:4 ; 4-byte Folded Spill
	buffer_store_dword v1, off, s[60:63], 0 offset:8 ; 4-byte Folded Spill
	;; [unrolled: 1-line block ×4, first 2 shown]
.LBB0_11:
	s_or_b32 exec_lo, exec_lo, s0
	v_add_nc_u32_e32 v0, 0x110, v72
	s_waitcnt lgkmcnt(15)
	v_add_f64 v[2:3], v[62:63], v[66:67]
	s_mov_b32 s0, 0x370991
	s_mov_b32 s2, 0x75d4884
	;; [unrolled: 1-line block ×3, first 2 shown]
	buffer_store_dword v0, off, s[60:63], 0 offset:668 ; 4-byte Folded Spill
	v_add_nc_u32_e32 v0, 0x220, v72
	s_mov_b32 s26, 0x3259b75e
	s_mov_b32 s34, 0xc61f0d01
	;; [unrolled: 1-line block ×4, first 2 shown]
	buffer_store_dword v0, off, s[60:63], 0 offset:664 ; 4-byte Folded Spill
	v_add_f64 v[0:1], v[60:61], v[64:65]
	s_mov_b32 s46, 0x7faef3
	s_mov_b32 s1, 0x3fedd6d0
	;; [unrolled: 1-line block ×10, first 2 shown]
	s_waitcnt lgkmcnt(14)
	v_add_f64 v[2:3], v[2:3], v[54:55]
	s_mov_b32 s18, 0x2a9d6da3
	s_mov_b32 s24, 0x7c9e640b
	;; [unrolled: 1-line block ×10, first 2 shown]
	v_add_f64 v[0:1], v[0:1], v[52:53]
	s_mov_b32 s19, 0xbfe58eea
	s_mov_b32 s13, 0x3fe58eea
	;; [unrolled: 1-line block ×10, first 2 shown]
	s_waitcnt lgkmcnt(13)
	v_add_f64 v[2:3], v[2:3], v[46:47]
	s_mov_b32 s43, 0x3feec746
	s_mov_b32 s42, s36
	;; [unrolled: 1-line block ×10, first 2 shown]
	v_add_f64 v[0:1], v[0:1], v[44:45]
	s_mov_b32 s56, s48
	s_waitcnt lgkmcnt(2)
	v_add_f64 v[152:153], v[46:47], -v[50:51]
	v_add_f64 v[142:143], v[44:45], v[48:49]
	v_add_f64 v[144:145], v[46:47], v[50:51]
	v_add_f64 v[146:147], v[44:45], -v[48:49]
	v_add_f64 v[2:3], v[2:3], v[38:39]
	v_add_f64 v[0:1], v[0:1], v[36:37]
	;; [unrolled: 1-line block ×22, first 2 shown]
	s_waitcnt lgkmcnt(1)
	v_add_f64 v[2:3], v[2:3], v[58:59]
	v_add_f64 v[0:1], v[0:1], v[56:57]
	s_waitcnt lgkmcnt(0)
	v_add_f64 v[2:3], v[2:3], v[70:71]
	v_add_f64 v[0:1], v[0:1], v[68:69]
	buffer_store_dword v0, off, s[60:63], 0 offset:676 ; 4-byte Folded Spill
	buffer_store_dword v1, off, s[60:63], 0 offset:680 ; 4-byte Folded Spill
	;; [unrolled: 1-line block ×4, first 2 shown]
	v_add_f64 v[2:3], v[66:67], v[70:71]
	v_add_f64 v[0:1], v[64:65], v[68:69]
	v_add_f64 v[64:65], v[64:65], -v[68:69]
	v_add_f64 v[66:67], v[66:67], -v[70:71]
	s_waitcnt_vscnt null, 0x0
	s_barrier
	buffer_gl0_inv
	v_mul_f64 v[72:73], v[2:3], s[0:1]
	v_mul_f64 v[81:82], v[2:3], s[2:3]
	;; [unrolled: 1-line block ×16, first 2 shown]
	v_fma_f64 v[74:75], v[64:65], s[4:5], v[72:73]
	v_fma_f64 v[72:73], v[64:65], s[20:21], v[72:73]
	v_fma_f64 v[83:84], v[64:65], s[12:13], v[81:82]
	v_fma_f64 v[81:82], v[64:65], s[18:19], v[81:82]
	v_fma_f64 v[91:92], v[64:65], s[22:23], v[89:90]
	v_fma_f64 v[89:90], v[64:65], s[24:25], v[89:90]
	v_fma_f64 v[108:109], v[64:65], s[50:51], v[97:98]
	v_fma_f64 v[97:98], v[64:65], s[30:31], v[97:98]
	v_fma_f64 v[124:125], v[64:65], s[42:43], v[114:115]
	v_fma_f64 v[114:115], v[64:65], s[36:37], v[114:115]
	v_fma_f64 v[148:149], v[64:65], s[54:55], v[138:139]
	v_fma_f64 v[138:139], v[64:65], s[40:41], v[138:139]
	v_fma_f64 v[120:121], v[64:65], s[52:53], v[118:119]
	v_fma_f64 v[118:119], v[64:65], s[44:45], v[118:119]
	v_fma_f64 v[128:129], v[64:65], s[56:57], v[2:3]
	v_fma_f64 v[2:3], v[64:65], s[48:49], v[2:3]
	v_fma_f64 v[70:71], v[0:1], s[0:1], v[68:69]
	v_fma_f64 v[68:69], v[0:1], s[0:1], -v[68:69]
	v_fma_f64 v[79:80], v[0:1], s[2:3], v[77:78]
	v_fma_f64 v[77:78], v[0:1], s[2:3], -v[77:78]
	v_fma_f64 v[87:88], v[0:1], s[16:17], v[85:86]
	v_fma_f64 v[85:86], v[0:1], s[16:17], -v[85:86]
	v_add_f64 v[74:75], v[62:63], v[74:75]
	v_add_f64 v[72:73], v[62:63], v[72:73]
	;; [unrolled: 1-line block ×6, first 2 shown]
	v_fma_f64 v[95:96], v[0:1], s[26:27], v[93:94]
	v_add_f64 v[108:109], v[62:63], v[108:109]
	v_fma_f64 v[93:94], v[0:1], s[26:27], -v[93:94]
	v_add_f64 v[97:98], v[62:63], v[97:98]
	v_fma_f64 v[112:113], v[0:1], s[34:35], v[110:111]
	v_add_f64 v[124:125], v[62:63], v[124:125]
	v_fma_f64 v[110:111], v[0:1], s[34:35], -v[110:111]
	v_add_f64 v[114:115], v[62:63], v[114:115]
	;; [unrolled: 4-line block ×5, first 2 shown]
	v_add_f64 v[62:63], v[54:55], v[58:59]
	v_add_f64 v[54:55], v[54:55], -v[58:59]
	v_add_f64 v[70:71], v[60:61], v[70:71]
	v_add_f64 v[68:69], v[60:61], v[68:69]
	v_add_f64 v[79:80], v[60:61], v[79:80]
	v_add_f64 v[77:78], v[60:61], v[77:78]
	v_add_f64 v[87:88], v[60:61], v[87:88]
	v_add_f64 v[85:86], v[60:61], v[85:86]
	v_add_f64 v[95:96], v[60:61], v[95:96]
	v_add_f64 v[93:94], v[60:61], v[93:94]
	v_add_f64 v[112:113], v[60:61], v[112:113]
	v_add_f64 v[110:111], v[60:61], v[110:111]
	v_add_f64 v[136:137], v[60:61], v[136:137]
	v_add_f64 v[126:127], v[60:61], v[126:127]
	v_add_f64 v[116:117], v[60:61], v[116:117]
	v_add_f64 v[122:123], v[60:61], v[122:123]
	v_add_f64 v[150:151], v[60:61], v[150:151]
	v_add_f64 v[0:1], v[60:61], v[0:1]
	v_add_f64 v[60:61], v[52:53], v[56:57]
	v_add_f64 v[52:53], v[52:53], -v[56:57]
	v_mul_f64 v[56:57], v[54:55], s[18:19]
	v_mul_f64 v[64:65], v[62:63], s[2:3]
	v_fma_f64 v[58:59], v[60:61], s[2:3], v[56:57]
	v_fma_f64 v[66:67], v[52:53], s[12:13], v[64:65]
	v_fma_f64 v[56:57], v[60:61], s[2:3], -v[56:57]
	v_fma_f64 v[64:65], v[52:53], s[18:19], v[64:65]
	v_add_f64 v[58:59], v[58:59], v[70:71]
	v_add_f64 v[66:67], v[66:67], v[74:75]
	;; [unrolled: 1-line block ×4, first 2 shown]
	v_mul_f64 v[68:69], v[54:55], s[30:31]
	v_mul_f64 v[72:73], v[62:63], s[26:27]
	v_fma_f64 v[70:71], v[60:61], s[26:27], v[68:69]
	v_fma_f64 v[74:75], v[52:53], s[50:51], v[72:73]
	v_fma_f64 v[68:69], v[60:61], s[26:27], -v[68:69]
	v_fma_f64 v[72:73], v[52:53], s[30:31], v[72:73]
	v_add_f64 v[70:71], v[70:71], v[79:80]
	v_add_f64 v[79:80], v[74:75], v[83:84]
	;; [unrolled: 1-line block ×4, first 2 shown]
	v_mul_f64 v[72:73], v[54:55], s[40:41]
	v_fma_f64 v[74:75], v[60:61], s[28:29], v[72:73]
	v_fma_f64 v[72:73], v[60:61], s[28:29], -v[72:73]
	v_add_f64 v[81:82], v[74:75], v[87:88]
	v_mul_f64 v[74:75], v[62:63], s[28:29]
	v_add_f64 v[130:131], v[72:73], v[85:86]
	v_fma_f64 v[72:73], v[52:53], s[40:41], v[74:75]
	v_fma_f64 v[83:84], v[52:53], s[54:55], v[74:75]
	v_add_f64 v[132:133], v[72:73], v[89:90]
	v_mul_f64 v[72:73], v[54:55], s[48:49]
	v_add_f64 v[91:92], v[83:84], v[91:92]
	v_fma_f64 v[74:75], v[60:61], s[46:47], v[72:73]
	v_fma_f64 v[72:73], v[60:61], s[46:47], -v[72:73]
	v_add_f64 v[95:96], v[74:75], v[95:96]
	v_mul_f64 v[74:75], v[62:63], s[46:47]
	v_add_f64 v[93:94], v[72:73], v[93:94]
	v_fma_f64 v[72:73], v[52:53], s[48:49], v[74:75]
	v_fma_f64 v[83:84], v[52:53], s[56:57], v[74:75]
	v_add_f64 v[97:98], v[72:73], v[97:98]
	v_mul_f64 v[72:73], v[54:55], s[52:53]
	v_add_f64 v[108:109], v[83:84], v[108:109]
	;; [unrolled: 10-line block ×3, first 2 shown]
	v_fma_f64 v[74:75], v[60:61], s[34:35], v[72:73]
	v_fma_f64 v[72:73], v[60:61], s[34:35], -v[72:73]
	v_add_f64 v[134:135], v[74:75], v[136:137]
	v_mul_f64 v[74:75], v[62:63], s[34:35]
	v_add_f64 v[126:127], v[72:73], v[126:127]
	v_fma_f64 v[72:73], v[52:53], s[42:43], v[74:75]
	v_fma_f64 v[83:84], v[52:53], s[36:37], v[74:75]
	v_add_f64 v[138:139], v[72:73], v[138:139]
	v_mul_f64 v[72:73], v[54:55], s[22:23]
	v_mul_f64 v[54:55], v[54:55], s[4:5]
	v_add_f64 v[136:137], v[83:84], v[148:149]
	v_fma_f64 v[74:75], v[60:61], s[16:17], v[72:73]
	v_fma_f64 v[72:73], v[60:61], s[16:17], -v[72:73]
	v_add_f64 v[116:117], v[74:75], v[116:117]
	v_mul_f64 v[74:75], v[62:63], s[16:17]
	v_add_f64 v[122:123], v[72:73], v[122:123]
	v_mul_f64 v[62:63], v[62:63], s[0:1]
	v_fma_f64 v[72:73], v[52:53], s[22:23], v[74:75]
	v_fma_f64 v[83:84], v[52:53], s[24:25], v[74:75]
	v_add_f64 v[118:119], v[72:73], v[118:119]
	v_fma_f64 v[72:73], v[60:61], s[0:1], v[54:55]
	v_fma_f64 v[54:55], v[60:61], s[0:1], -v[54:55]
	v_add_f64 v[120:121], v[83:84], v[120:121]
	v_add_f64 v[148:149], v[72:73], v[150:151]
	;; [unrolled: 1-line block ×3, first 2 shown]
	v_fma_f64 v[0:1], v[52:53], s[4:5], v[62:63]
	v_fma_f64 v[72:73], v[52:53], s[20:21], v[62:63]
	v_add_f64 v[140:141], v[0:1], v[2:3]
	v_mul_f64 v[0:1], v[152:153], s[24:25]
	v_add_f64 v[128:129], v[72:73], v[128:129]
	v_fma_f64 v[2:3], v[142:143], s[16:17], v[0:1]
	v_fma_f64 v[0:1], v[142:143], s[16:17], -v[0:1]
	v_add_f64 v[89:90], v[2:3], v[58:59]
	v_mul_f64 v[2:3], v[144:145], s[16:17]
	v_add_f64 v[74:75], v[0:1], v[56:57]
	v_fma_f64 v[44:45], v[146:147], s[22:23], v[2:3]
	v_fma_f64 v[0:1], v[146:147], s[24:25], v[2:3]
	v_mul_f64 v[2:3], v[152:153], s[40:41]
	v_add_f64 v[72:73], v[44:45], v[66:67]
	v_add_f64 v[87:88], v[0:1], v[64:65]
	v_fma_f64 v[0:1], v[142:143], s[28:29], v[2:3]
	v_mul_f64 v[44:45], v[144:145], s[28:29]
	v_fma_f64 v[2:3], v[142:143], s[28:29], -v[2:3]
	v_add_f64 v[85:86], v[0:1], v[70:71]
	v_fma_f64 v[0:1], v[146:147], s[54:55], v[44:45]
	v_fma_f64 v[44:45], v[146:147], s[40:41], v[44:45]
	v_add_f64 v[2:3], v[2:3], v[68:69]
	v_add_f64 v[0:1], v[0:1], v[79:80]
	;; [unrolled: 1-line block ×3, first 2 shown]
	v_mul_f64 v[44:45], v[152:153], s[56:57]
	v_fma_f64 v[46:47], v[142:143], s[46:47], v[44:45]
	v_fma_f64 v[44:45], v[142:143], s[46:47], -v[44:45]
	v_add_f64 v[81:82], v[46:47], v[81:82]
	v_mul_f64 v[46:47], v[144:145], s[46:47]
	v_add_f64 v[77:78], v[44:45], v[130:131]
	v_fma_f64 v[44:45], v[146:147], s[56:57], v[46:47]
	v_fma_f64 v[48:49], v[146:147], s[48:49], v[46:47]
	v_add_f64 v[79:80], v[44:45], v[132:133]
	v_mul_f64 v[44:45], v[152:153], s[42:43]
	v_add_f64 v[70:71], v[48:49], v[91:92]
	v_mul_f64 v[91:92], v[152:153], s[30:31]
	v_fma_f64 v[46:47], v[142:143], s[34:35], v[44:45]
	v_fma_f64 v[44:45], v[142:143], s[34:35], -v[44:45]
	v_fma_f64 v[50:51], v[142:143], s[26:27], v[91:92]
	v_fma_f64 v[91:92], v[142:143], s[26:27], -v[91:92]
	v_add_f64 v[68:69], v[46:47], v[95:96]
	v_mul_f64 v[46:47], v[144:145], s[34:35]
	v_add_f64 v[64:65], v[44:45], v[93:94]
	v_mul_f64 v[93:94], v[144:145], s[26:27]
	v_add_f64 v[50:51], v[50:51], v[116:117]
	v_add_f64 v[116:117], v[36:37], v[40:41]
	v_fma_f64 v[44:45], v[146:147], s[42:43], v[46:47]
	v_fma_f64 v[48:49], v[146:147], s[36:37], v[46:47]
	;; [unrolled: 1-line block ×3, first 2 shown]
	v_add_f64 v[66:67], v[44:45], v[97:98]
	v_mul_f64 v[44:45], v[152:153], s[12:13]
	v_add_f64 v[62:63], v[48:49], v[108:109]
	v_add_f64 v[108:109], v[91:92], v[122:123]
	v_fma_f64 v[91:92], v[146:147], s[30:31], v[93:94]
	v_add_f64 v[97:98], v[95:96], v[120:121]
	v_add_f64 v[120:121], v[36:37], -v[40:41]
	v_fma_f64 v[46:47], v[142:143], s[2:3], v[44:45]
	v_fma_f64 v[44:45], v[142:143], s[2:3], -v[44:45]
	v_add_f64 v[60:61], v[46:47], v[112:113]
	v_add_f64 v[56:57], v[44:45], v[110:111]
	;; [unrolled: 1-line block ×3, first 2 shown]
	v_mul_f64 v[91:92], v[152:153], s[44:45]
	v_add_f64 v[118:119], v[38:39], v[42:43]
	v_add_f64 v[42:43], v[38:39], -v[42:43]
	v_mul_f64 v[46:47], v[144:145], s[2:3]
	v_fma_f64 v[93:94], v[142:143], s[38:39], v[91:92]
	v_fma_f64 v[91:92], v[142:143], s[38:39], -v[91:92]
	v_mul_f64 v[36:37], v[42:43], s[30:31]
	v_fma_f64 v[44:45], v[146:147], s[12:13], v[46:47]
	v_fma_f64 v[48:49], v[146:147], s[18:19], v[46:47]
	v_mul_f64 v[46:47], v[152:153], s[20:21]
	v_add_f64 v[112:113], v[93:94], v[148:149]
	v_mul_f64 v[93:94], v[144:145], s[38:39]
	v_fma_f64 v[38:39], v[116:117], s[26:27], v[36:37]
	v_add_f64 v[58:59], v[44:45], v[114:115]
	v_fma_f64 v[36:37], v[116:117], s[26:27], -v[36:37]
	v_add_f64 v[54:55], v[48:49], v[124:125]
	v_add_f64 v[124:125], v[91:92], v[150:151]
	v_fma_f64 v[44:45], v[142:143], s[0:1], v[46:47]
	v_fma_f64 v[46:47], v[142:143], s[0:1], -v[46:47]
	v_mul_f64 v[48:49], v[144:145], s[0:1]
	v_fma_f64 v[95:96], v[146:147], s[52:53], v[93:94]
	v_fma_f64 v[91:92], v[146:147], s[44:45], v[93:94]
	v_add_f64 v[52:53], v[44:45], v[134:135]
	v_add_f64 v[46:47], v[46:47], v[126:127]
	v_fma_f64 v[44:45], v[146:147], s[4:5], v[48:49]
	v_fma_f64 v[48:49], v[146:147], s[20:21], v[48:49]
	v_add_f64 v[114:115], v[95:96], v[128:129]
	v_add_f64 v[95:96], v[38:39], v[89:90]
	v_mul_f64 v[38:39], v[118:119], s[26:27]
	v_add_f64 v[126:127], v[91:92], v[140:141]
	v_add_f64 v[44:45], v[44:45], v[136:137]
	;; [unrolled: 1-line block ×3, first 2 shown]
	v_fma_f64 v[40:41], v[120:121], s[50:51], v[38:39]
	v_add_f64 v[93:94], v[40:41], v[72:73]
	v_add_f64 v[72:73], v[36:37], v[74:75]
	v_fma_f64 v[36:37], v[120:121], s[30:31], v[38:39]
	v_add_f64 v[74:75], v[36:37], v[87:88]
	v_mul_f64 v[36:37], v[42:43], s[48:49]
	v_fma_f64 v[38:39], v[116:117], s[46:47], v[36:37]
	v_add_f64 v[91:92], v[38:39], v[85:86]
	v_mul_f64 v[38:39], v[118:119], s[46:47]
	v_fma_f64 v[40:41], v[120:121], s[56:57], v[38:39]
	v_add_f64 v[89:90], v[40:41], v[0:1]
	v_fma_f64 v[0:1], v[116:117], s[46:47], -v[36:37]
	v_mul_f64 v[36:37], v[42:43], s[42:43]
	v_add_f64 v[0:1], v[0:1], v[2:3]
	v_fma_f64 v[2:3], v[120:121], s[48:49], v[38:39]
	v_fma_f64 v[38:39], v[116:117], s[34:35], v[36:37]
	v_fma_f64 v[36:37], v[116:117], s[34:35], -v[36:37]
	v_add_f64 v[2:3], v[2:3], v[83:84]
	v_add_f64 v[87:88], v[38:39], v[81:82]
	v_mul_f64 v[38:39], v[118:119], s[34:35]
	v_add_f64 v[83:84], v[36:37], v[77:78]
	v_fma_f64 v[36:37], v[120:121], s[42:43], v[38:39]
	v_fma_f64 v[40:41], v[120:121], s[36:37], v[38:39]
	v_add_f64 v[85:86], v[36:37], v[79:80]
	v_mul_f64 v[36:37], v[42:43], s[4:5]
	v_add_f64 v[81:82], v[40:41], v[70:71]
	v_fma_f64 v[38:39], v[116:117], s[0:1], v[36:37]
	v_fma_f64 v[36:37], v[116:117], s[0:1], -v[36:37]
	v_add_f64 v[79:80], v[38:39], v[68:69]
	v_mul_f64 v[38:39], v[118:119], s[0:1]
	v_add_f64 v[70:71], v[36:37], v[64:65]
	v_fma_f64 v[36:37], v[120:121], s[4:5], v[38:39]
	v_fma_f64 v[40:41], v[120:121], s[20:21], v[38:39]
	v_add_f64 v[77:78], v[36:37], v[66:67]
	v_mul_f64 v[36:37], v[42:43], s[24:25]
	v_add_f64 v[68:69], v[40:41], v[62:63]
	v_fma_f64 v[38:39], v[116:117], s[16:17], v[36:37]
	v_fma_f64 v[36:37], v[116:117], s[16:17], -v[36:37]
	;; [unrolled: 10-line block ×3, first 2 shown]
	v_add_f64 v[58:59], v[38:39], v[52:53]
	v_mul_f64 v[38:39], v[118:119], s[38:39]
	v_add_f64 v[54:55], v[36:37], v[46:47]
	v_mul_f64 v[46:47], v[42:43], s[12:13]
	v_fma_f64 v[40:41], v[120:121], s[52:53], v[38:39]
	v_fma_f64 v[36:37], v[120:121], s[44:45], v[38:39]
	v_mul_f64 v[38:39], v[42:43], s[54:55]
	v_fma_f64 v[42:43], v[116:117], s[2:3], v[46:47]
	v_fma_f64 v[46:47], v[116:117], s[2:3], -v[46:47]
	v_add_f64 v[52:53], v[40:41], v[44:45]
	v_add_f64 v[56:57], v[36:37], v[48:49]
	v_fma_f64 v[36:37], v[116:117], s[28:29], v[38:39]
	v_mul_f64 v[40:41], v[118:119], s[28:29]
	v_fma_f64 v[38:39], v[116:117], s[28:29], -v[38:39]
	v_add_f64 v[42:43], v[42:43], v[112:113]
	v_mul_f64 v[48:49], v[118:119], s[2:3]
	v_add_f64 v[46:47], v[46:47], v[124:125]
	v_add_f64 v[50:51], v[36:37], v[50:51]
	v_fma_f64 v[36:37], v[120:121], s[40:41], v[40:41]
	v_add_f64 v[38:39], v[38:39], v[108:109]
	v_add_f64 v[108:109], v[30:31], v[34:35]
	v_add_f64 v[30:31], v[30:31], -v[34:35]
	v_fma_f64 v[40:41], v[120:121], s[54:55], v[40:41]
	v_fma_f64 v[44:45], v[120:121], s[18:19], v[48:49]
	;; [unrolled: 1-line block ×3, first 2 shown]
	v_add_f64 v[36:37], v[36:37], v[97:98]
	v_add_f64 v[97:98], v[28:29], v[32:33]
	v_add_f64 v[28:29], v[28:29], -v[32:33]
	v_mul_f64 v[32:33], v[30:31], s[36:37]
	v_add_f64 v[40:41], v[40:41], v[110:111]
	v_add_f64 v[44:45], v[44:45], v[114:115]
	;; [unrolled: 1-line block ×3, first 2 shown]
	v_fma_f64 v[34:35], v[97:98], s[34:35], v[32:33]
	v_fma_f64 v[32:33], v[97:98], s[34:35], -v[32:33]
	v_add_f64 v[34:35], v[34:35], v[95:96]
	v_mul_f64 v[95:96], v[108:109], s[34:35]
	v_add_f64 v[32:33], v[32:33], v[72:73]
	v_fma_f64 v[72:73], v[28:29], s[36:37], v[95:96]
	v_fma_f64 v[110:111], v[28:29], s[42:43], v[95:96]
	v_add_f64 v[72:73], v[72:73], v[74:75]
	v_mul_f64 v[74:75], v[30:31], s[52:53]
	v_add_f64 v[93:94], v[110:111], v[93:94]
	v_fma_f64 v[95:96], v[97:98], s[38:39], v[74:75]
	v_fma_f64 v[74:75], v[97:98], s[38:39], -v[74:75]
	v_add_f64 v[91:92], v[95:96], v[91:92]
	v_mul_f64 v[95:96], v[108:109], s[38:39]
	v_add_f64 v[0:1], v[74:75], v[0:1]
	v_fma_f64 v[74:75], v[28:29], s[52:53], v[95:96]
	v_fma_f64 v[110:111], v[28:29], s[44:45], v[95:96]
	v_add_f64 v[2:3], v[74:75], v[2:3]
	v_mul_f64 v[74:75], v[30:31], s[12:13]
	v_add_f64 v[89:90], v[110:111], v[89:90]
	;; [unrolled: 10-line block ×6, first 2 shown]
	v_mul_f64 v[30:31], v[30:31], s[40:41]
	v_fma_f64 v[95:96], v[97:98], s[0:1], v[85:86]
	v_fma_f64 v[85:86], v[97:98], s[0:1], -v[85:86]
	v_add_f64 v[95:96], v[95:96], v[50:51]
	v_mul_f64 v[50:51], v[108:109], s[0:1]
	v_add_f64 v[38:39], v[85:86], v[38:39]
	v_fma_f64 v[110:111], v[28:29], s[4:5], v[50:51]
	v_fma_f64 v[50:51], v[28:29], s[20:21], v[50:51]
	v_add_f64 v[36:37], v[110:111], v[36:37]
	v_add_f64 v[40:41], v[50:51], v[40:41]
	v_fma_f64 v[50:51], v[97:98], s[28:29], v[30:31]
	v_fma_f64 v[30:31], v[97:98], s[28:29], -v[30:31]
	v_add_f64 v[97:98], v[20:21], -v[24:25]
	v_add_f64 v[42:43], v[50:51], v[42:43]
	v_mul_f64 v[50:51], v[108:109], s[28:29]
	v_add_f64 v[30:31], v[30:31], v[46:47]
	v_fma_f64 v[85:86], v[28:29], s[54:55], v[50:51]
	v_fma_f64 v[28:29], v[28:29], s[40:41], v[50:51]
	v_add_f64 v[44:45], v[85:86], v[44:45]
	v_add_f64 v[46:47], v[28:29], v[48:49]
	;; [unrolled: 1-line block ×3, first 2 shown]
	v_add_f64 v[24:25], v[22:23], -v[26:27]
	v_add_f64 v[85:86], v[22:23], v[26:27]
	v_mul_f64 v[20:21], v[24:25], s[40:41]
	v_fma_f64 v[22:23], v[48:49], s[28:29], v[20:21]
	v_fma_f64 v[20:21], v[48:49], s[28:29], -v[20:21]
	v_add_f64 v[34:35], v[22:23], v[34:35]
	v_mul_f64 v[22:23], v[85:86], s[28:29]
	v_add_f64 v[108:109], v[20:21], v[32:33]
	v_fma_f64 v[20:21], v[97:98], s[40:41], v[22:23]
	v_fma_f64 v[26:27], v[97:98], s[54:55], v[22:23]
	v_add_f64 v[72:73], v[20:21], v[72:73]
	v_mul_f64 v[20:21], v[24:25], s[42:43]
	v_add_f64 v[93:94], v[26:27], v[93:94]
	v_fma_f64 v[22:23], v[48:49], s[34:35], v[20:21]
	v_fma_f64 v[20:21], v[48:49], s[34:35], -v[20:21]
	v_add_f64 v[91:92], v[22:23], v[91:92]
	v_mul_f64 v[22:23], v[85:86], s[34:35]
	v_add_f64 v[110:111], v[20:21], v[0:1]
	v_fma_f64 v[0:1], v[97:98], s[42:43], v[22:23]
	v_fma_f64 v[26:27], v[97:98], s[36:37], v[22:23]
	v_mul_f64 v[22:23], v[85:86], s[46:47]
	v_add_f64 v[112:113], v[0:1], v[2:3]
	v_mul_f64 v[0:1], v[24:25], s[20:21]
	v_add_f64 v[89:90], v[26:27], v[89:90]
	v_fma_f64 v[2:3], v[48:49], s[0:1], v[0:1]
	v_fma_f64 v[0:1], v[48:49], s[0:1], -v[0:1]
	v_add_f64 v[87:88], v[2:3], v[87:88]
	v_mul_f64 v[2:3], v[85:86], s[0:1]
	v_add_f64 v[74:75], v[0:1], v[74:75]
	v_fma_f64 v[0:1], v[97:98], s[20:21], v[2:3]
	v_fma_f64 v[20:21], v[97:98], s[4:5], v[2:3]
	v_add_f64 v[83:84], v[0:1], v[83:84]
	v_mul_f64 v[0:1], v[24:25], s[44:45]
	v_add_f64 v[81:82], v[20:21], v[81:82]
	v_fma_f64 v[2:3], v[48:49], s[38:39], v[0:1]
	v_fma_f64 v[0:1], v[48:49], s[38:39], -v[0:1]
	v_add_f64 v[79:80], v[2:3], v[79:80]
	v_mul_f64 v[2:3], v[85:86], s[38:39]
	v_add_f64 v[70:71], v[0:1], v[70:71]
	v_fma_f64 v[0:1], v[97:98], s[44:45], v[2:3]
	v_fma_f64 v[20:21], v[97:98], s[52:53], v[2:3]
	v_add_f64 v[77:78], v[0:1], v[77:78]
	v_mul_f64 v[0:1], v[24:25], s[50:51]
	v_add_f64 v[68:69], v[20:21], v[68:69]
	v_fma_f64 v[2:3], v[48:49], s[26:27], v[0:1]
	v_fma_f64 v[0:1], v[48:49], s[26:27], -v[0:1]
	v_add_f64 v[114:115], v[2:3], v[60:61]
	v_mul_f64 v[2:3], v[85:86], s[26:27]
	v_add_f64 v[32:33], v[0:1], v[64:65]
	v_add_f64 v[60:61], v[14:15], v[18:19]
	v_add_f64 v[14:15], v[14:15], -v[18:19]
	v_fma_f64 v[0:1], v[97:98], s[50:51], v[2:3]
	v_fma_f64 v[20:21], v[97:98], s[30:31], v[2:3]
	v_add_f64 v[50:51], v[0:1], v[66:67]
	v_mul_f64 v[0:1], v[24:25], s[18:19]
	v_add_f64 v[28:29], v[20:21], v[62:63]
	v_fma_f64 v[2:3], v[48:49], s[2:3], v[0:1]
	v_fma_f64 v[0:1], v[48:49], s[2:3], -v[0:1]
	v_add_f64 v[62:63], v[2:3], v[58:59]
	v_mul_f64 v[2:3], v[85:86], s[2:3]
	v_add_f64 v[54:55], v[0:1], v[54:55]
	v_fma_f64 v[20:21], v[97:98], s[12:13], v[2:3]
	v_fma_f64 v[0:1], v[97:98], s[18:19], v[2:3]
	;; [unrolled: 1-line block ×4, first 2 shown]
	v_add_f64 v[52:53], v[20:21], v[52:53]
	v_mul_f64 v[20:21], v[24:25], s[48:49]
	v_add_f64 v[64:65], v[0:1], v[56:57]
	v_add_f64 v[2:3], v[2:3], v[36:37]
	v_mul_f64 v[36:37], v[24:25], s[22:23]
	v_add_f64 v[56:57], v[12:13], v[16:17]
	v_add_f64 v[12:13], v[12:13], -v[16:17]
	v_mul_f64 v[16:17], v[14:15], s[44:45]
	v_add_f64 v[22:23], v[22:23], v[40:41]
	v_fma_f64 v[0:1], v[48:49], s[46:47], v[20:21]
	v_fma_f64 v[20:21], v[48:49], s[46:47], -v[20:21]
	v_fma_f64 v[24:25], v[48:49], s[16:17], v[36:37]
	v_fma_f64 v[36:37], v[48:49], s[16:17], -v[36:37]
	;; [unrolled: 2-line block ×3, first 2 shown]
	v_add_f64 v[0:1], v[0:1], v[95:96]
	v_add_f64 v[20:21], v[20:21], v[38:39]
	v_mul_f64 v[38:39], v[85:86], s[16:17]
	v_add_f64 v[24:25], v[24:25], v[42:43]
	v_add_f64 v[30:31], v[36:37], v[30:31]
	v_add_f64 v[95:96], v[6:7], -v[10:11]
	v_add_f64 v[18:19], v[18:19], v[34:35]
	v_mul_f64 v[34:35], v[60:61], s[38:39]
	v_add_f64 v[16:17], v[16:17], v[108:109]
	v_fma_f64 v[36:37], v[97:98], s[22:23], v[38:39]
	v_fma_f64 v[26:27], v[97:98], s[24:25], v[38:39]
	v_add_f64 v[42:43], v[36:37], v[46:47]
	v_fma_f64 v[36:37], v[12:13], s[52:53], v[34:35]
	v_fma_f64 v[34:35], v[12:13], s[44:45], v[34:35]
	v_add_f64 v[26:27], v[26:27], v[44:45]
	v_add_f64 v[66:67], v[36:37], v[93:94]
	;; [unrolled: 1-line block ×3, first 2 shown]
	v_mul_f64 v[34:35], v[14:15], s[22:23]
	v_fma_f64 v[36:37], v[56:57], s[16:17], v[34:35]
	v_fma_f64 v[34:35], v[56:57], s[16:17], -v[34:35]
	v_add_f64 v[85:86], v[36:37], v[91:92]
	v_mul_f64 v[36:37], v[60:61], s[16:17]
	v_add_f64 v[91:92], v[34:35], v[110:111]
	v_fma_f64 v[34:35], v[12:13], s[22:23], v[36:37]
	v_fma_f64 v[38:39], v[12:13], s[24:25], v[36:37]
	v_add_f64 v[93:94], v[34:35], v[112:113]
	v_mul_f64 v[34:35], v[14:15], s[30:31]
	v_add_f64 v[89:90], v[38:39], v[89:90]
	v_fma_f64 v[36:37], v[56:57], s[26:27], v[34:35]
	v_fma_f64 v[34:35], v[56:57], s[26:27], -v[34:35]
	v_add_f64 v[87:88], v[36:37], v[87:88]
	v_mul_f64 v[36:37], v[60:61], s[26:27]
	v_add_f64 v[46:47], v[34:35], v[74:75]
	v_fma_f64 v[38:39], v[12:13], s[50:51], v[36:37]
	v_fma_f64 v[34:35], v[12:13], s[30:31], v[36:37]
	v_mul_f64 v[36:37], v[14:15], s[54:55]
	v_add_f64 v[44:45], v[38:39], v[81:82]
	v_add_f64 v[48:49], v[34:35], v[83:84]
	v_fma_f64 v[34:35], v[56:57], s[28:29], v[36:37]
	v_mul_f64 v[38:39], v[60:61], s[28:29]
	v_fma_f64 v[36:37], v[56:57], s[28:29], -v[36:37]
	v_add_f64 v[40:41], v[34:35], v[79:80]
	v_fma_f64 v[34:35], v[12:13], s[40:41], v[38:39]
	v_add_f64 v[36:37], v[36:37], v[70:71]
	v_mul_f64 v[70:71], v[60:61], s[0:1]
	v_fma_f64 v[38:39], v[12:13], s[54:55], v[38:39]
	v_add_f64 v[34:35], v[34:35], v[68:69]
	v_mul_f64 v[68:69], v[14:15], s[20:21]
	v_fma_f64 v[74:75], v[12:13], s[4:5], v[70:71]
	v_add_f64 v[38:39], v[38:39], v[77:78]
	v_fma_f64 v[58:59], v[56:57], s[0:1], v[68:69]
	v_add_f64 v[74:75], v[74:75], v[28:29]
	v_fma_f64 v[28:29], v[56:57], s[0:1], -v[68:69]
	v_add_f64 v[58:59], v[58:59], v[114:115]
	v_add_f64 v[68:69], v[28:29], v[32:33]
	v_fma_f64 v[28:29], v[12:13], s[20:21], v[70:71]
	v_add_f64 v[70:71], v[28:29], v[50:51]
	v_mul_f64 v[28:29], v[14:15], s[48:49]
	v_fma_f64 v[32:33], v[56:57], s[46:47], v[28:29]
	v_fma_f64 v[28:29], v[56:57], s[46:47], -v[28:29]
	v_add_f64 v[77:78], v[32:33], v[62:63]
	v_mul_f64 v[32:33], v[60:61], s[46:47]
	v_add_f64 v[81:82], v[28:29], v[54:55]
	v_fma_f64 v[28:29], v[12:13], s[48:49], v[32:33]
	v_fma_f64 v[50:51], v[12:13], s[56:57], v[32:33]
	v_add_f64 v[83:84], v[28:29], v[64:65]
	v_mul_f64 v[28:29], v[14:15], s[12:13]
	v_add_f64 v[79:80], v[50:51], v[52:53]
	v_fma_f64 v[32:33], v[56:57], s[2:3], v[28:29]
	v_add_f64 v[62:63], v[32:33], v[0:1]
	v_mul_f64 v[0:1], v[60:61], s[2:3]
	v_fma_f64 v[32:33], v[12:13], s[18:19], v[0:1]
	v_fma_f64 v[0:1], v[12:13], s[12:13], v[0:1]
	v_add_f64 v[50:51], v[32:33], v[2:3]
	v_fma_f64 v[2:3], v[56:57], s[2:3], -v[28:29]
	v_add_f64 v[54:55], v[0:1], v[22:23]
	v_mul_f64 v[0:1], v[14:15], s[36:37]
	v_add_f64 v[52:53], v[2:3], v[20:21]
	v_mul_f64 v[20:21], v[95:96], s[44:45]
	v_fma_f64 v[2:3], v[56:57], s[34:35], v[0:1]
	v_fma_f64 v[0:1], v[56:57], s[34:35], -v[0:1]
	v_add_f64 v[32:33], v[2:3], v[24:25]
	v_mul_f64 v[2:3], v[60:61], s[34:35]
	v_add_f64 v[24:25], v[0:1], v[30:31]
	v_add_f64 v[30:31], v[6:7], v[10:11]
	v_mul_f64 v[60:61], v[95:96], s[22:23]
	v_fma_f64 v[14:15], v[12:13], s[42:43], v[2:3]
	v_fma_f64 v[0:1], v[12:13], s[36:37], v[2:3]
	v_add_f64 v[2:3], v[4:5], -v[8:9]
	v_add_f64 v[28:29], v[14:15], v[26:27]
	v_add_f64 v[26:27], v[4:5], v[8:9]
	;; [unrolled: 1-line block ×3, first 2 shown]
	v_mul_f64 v[4:5], v[95:96], s[48:49]
	v_fma_f64 v[22:23], v[26:27], s[38:39], v[20:21]
	v_fma_f64 v[20:21], v[26:27], s[38:39], -v[20:21]
	v_fma_f64 v[6:7], v[26:27], s[46:47], v[4:5]
	v_fma_f64 v[64:65], v[26:27], s[16:17], v[60:61]
	v_fma_f64 v[60:61], v[26:27], s[16:17], -v[60:61]
	v_fma_f64 v[4:5], v[26:27], s[46:47], -v[4:5]
	v_add_f64 v[42:43], v[22:23], v[87:88]
	v_mul_f64 v[22:23], v[30:31], s[38:39]
	v_add_f64 v[20:21], v[20:21], v[46:47]
	v_add_f64 v[12:13], v[6:7], v[18:19]
	v_mul_f64 v[6:7], v[30:31], s[46:47]
	v_add_f64 v[4:5], v[4:5], v[16:17]
	v_add_f64 v[64:65], v[64:65], v[77:78]
	v_fma_f64 v[56:57], v[2:3], s[52:53], v[22:23]
	v_fma_f64 v[22:23], v[2:3], s[44:45], v[22:23]
	;; [unrolled: 1-line block ×4, first 2 shown]
	v_add_f64 v[44:45], v[56:57], v[44:45]
	v_mul_f64 v[56:57], v[95:96], s[12:13]
	v_add_f64 v[22:23], v[22:23], v[48:49]
	v_add_f64 v[14:15], v[8:9], v[66:67]
	;; [unrolled: 1-line block ×3, first 2 shown]
	v_mul_f64 v[72:73], v[95:96], s[36:37]
	v_mul_f64 v[8:9], v[95:96], s[4:5]
	v_fma_f64 v[46:47], v[26:27], s[2:3], v[56:57]
	v_fma_f64 v[10:11], v[26:27], s[0:1], v[8:9]
	v_fma_f64 v[8:9], v[26:27], s[0:1], -v[8:9]
	v_add_f64 v[46:47], v[46:47], v[40:41]
	v_mul_f64 v[40:41], v[30:31], s[2:3]
	v_add_f64 v[16:17], v[10:11], v[85:86]
	v_mul_f64 v[10:11], v[30:31], s[0:1]
	v_add_f64 v[8:9], v[8:9], v[91:92]
	v_fma_f64 v[48:49], v[2:3], s[18:19], v[40:41]
	v_fma_f64 v[18:19], v[2:3], s[20:21], v[10:11]
	;; [unrolled: 1-line block ×3, first 2 shown]
	v_add_f64 v[48:49], v[48:49], v[34:35]
	v_fma_f64 v[34:35], v[26:27], s[2:3], -v[56:57]
	v_mul_f64 v[56:57], v[95:96], s[40:41]
	v_add_f64 v[18:19], v[18:19], v[89:90]
	v_add_f64 v[10:11], v[10:11], v[93:94]
	v_add_f64 v[34:35], v[34:35], v[36:37]
	v_fma_f64 v[36:37], v[2:3], s[12:13], v[40:41]
	v_add_f64 v[36:37], v[36:37], v[38:39]
	v_fma_f64 v[38:39], v[26:27], s[28:29], v[56:57]
	v_fma_f64 v[56:57], v[26:27], s[28:29], -v[56:57]
	v_add_f64 v[38:39], v[38:39], v[58:59]
	v_mul_f64 v[58:59], v[30:31], s[28:29]
	v_add_f64 v[56:57], v[56:57], v[68:69]
	v_add_f64 v[68:69], v[60:61], v[81:82]
	v_fma_f64 v[40:41], v[2:3], s[54:55], v[58:59]
	v_fma_f64 v[58:59], v[2:3], s[40:41], v[58:59]
	v_add_f64 v[40:41], v[40:41], v[74:75]
	v_add_f64 v[58:59], v[58:59], v[70:71]
	v_mul_f64 v[70:71], v[30:31], s[16:17]
	v_mul_f64 v[74:75], v[30:31], s[34:35]
	;; [unrolled: 1-line block ×3, first 2 shown]
	v_fma_f64 v[60:61], v[2:3], s[22:23], v[70:71]
	v_fma_f64 v[66:67], v[2:3], s[24:25], v[70:71]
	v_add_f64 v[70:71], v[60:61], v[83:84]
	v_fma_f64 v[60:61], v[26:27], s[34:35], v[72:73]
	v_add_f64 v[66:67], v[66:67], v[79:80]
	v_add_f64 v[60:61], v[60:61], v[62:63]
	v_fma_f64 v[62:63], v[2:3], s[42:43], v[74:75]
	v_add_f64 v[62:63], v[62:63], v[50:51]
	v_fma_f64 v[50:51], v[26:27], s[34:35], -v[72:73]
	v_add_f64 v[50:51], v[50:51], v[52:53]
	v_fma_f64 v[52:53], v[2:3], s[36:37], v[74:75]
	v_add_f64 v[52:53], v[52:53], v[54:55]
	v_mul_f64 v[54:55], v[95:96], s[50:51]
	v_fma_f64 v[72:73], v[26:27], s[26:27], v[54:55]
	v_fma_f64 v[26:27], v[26:27], s[26:27], -v[54:55]
	v_add_f64 v[72:73], v[72:73], v[32:33]
	v_fma_f64 v[32:33], v[2:3], s[30:31], v[30:31]
	v_fma_f64 v[2:3], v[2:3], s[50:51], v[30:31]
	v_add_f64 v[24:25], v[26:27], v[24:25]
	v_add_f64 v[74:75], v[32:33], v[28:29]
	;; [unrolled: 1-line block ×3, first 2 shown]
	s_clause 0x3
	buffer_load_dword v0, off, s[60:63], 0 offset:676
	buffer_load_dword v1, off, s[60:63], 0 offset:680
	buffer_load_dword v2, off, s[60:63], 0 offset:684
	buffer_load_dword v3, off, s[60:63], 0 offset:688
	s_waitcnt vmcnt(0)
	ds_write_b128 v99, v[0:3]
	ds_write_b128 v99, v[12:15] offset:16
	ds_write_b128 v99, v[16:19] offset:32
	;; [unrolled: 1-line block ×16, first 2 shown]
	s_and_saveexec_b32 s33, vcc_lo
	s_cbranch_execz .LBB0_13
; %bb.12:
	s_clause 0x33
	buffer_load_dword v14, off, s[60:63], 0 offset:52
	buffer_load_dword v15, off, s[60:63], 0 offset:56
	;; [unrolled: 1-line block ×52, first 2 shown]
	v_add_f64 v[0:1], v[242:243], v[246:247]
	v_add_f64 v[2:3], v[240:241], v[244:245]
	v_mov_b32_e32 v99, v154
	v_add_f64 v[0:1], v[0:1], v[250:251]
	v_add_f64 v[2:3], v[2:3], v[248:249]
	v_add_f64 v[0:1], v[0:1], v[254:255]
	v_add_f64 v[2:3], v[2:3], v[252:253]
	s_waitcnt vmcnt(48)
	v_add_f64 v[0:1], v[0:1], v[16:17]
	v_add_f64 v[2:3], v[2:3], v[14:15]
	s_waitcnt vmcnt(30)
	v_add_f64 v[30:31], v[108:109], -v[112:113]
	s_waitcnt vmcnt(26)
	v_add_f64 v[38:39], v[85:86], -v[93:94]
	s_waitcnt vmcnt(24)
	v_add_f64 v[28:29], v[87:88], v[95:96]
	s_waitcnt vmcnt(20)
	v_add_f64 v[34:35], v[79:80], v[83:84]
	s_waitcnt vmcnt(18)
	v_add_f64 v[50:51], v[64:65], -v[70:71]
	s_waitcnt vmcnt(8)
	v_add_f64 v[8:9], v[246:247], -v[126:127]
	v_add_f64 v[4:5], v[244:245], -v[124:125]
	;; [unrolled: 1-line block ×3, first 2 shown]
	s_waitcnt vmcnt(0)
	v_add_f64 v[62:63], v[250:251], v[91:92]
	v_add_f64 v[32:33], v[85:86], v[93:94]
	v_add_f64 v[46:47], v[87:88], -v[95:96]
	v_add_f64 v[56:57], v[79:80], -v[83:84]
	v_add_f64 v[52:53], v[64:65], v[70:71]
	v_add_f64 v[44:45], v[77:78], -v[81:82]
	v_add_f64 v[42:43], v[66:67], v[72:73]
	v_add_f64 v[48:49], v[16:17], v[20:21]
	v_add_f64 v[60:61], v[252:253], -v[10:11]
	v_add_f64 v[0:1], v[0:1], v[66:67]
	v_add_f64 v[2:3], v[2:3], v[64:65]
	;; [unrolled: 1-line block ×4, first 2 shown]
	v_add_f64 v[68:69], v[248:249], -v[89:90]
	v_add_f64 v[6:7], v[246:247], v[126:127]
	v_add_f64 v[40:41], v[77:78], v[81:82]
	v_add_f64 v[66:67], v[66:67], -v[72:73]
	v_add_f64 v[74:75], v[254:255], -v[12:13]
	v_add_f64 v[26:27], v[108:109], v[112:113]
	v_mul_f64 v[97:98], v[8:9], s[18:19]
	v_mul_f64 v[14:15], v[4:5], s[40:41]
	;; [unrolled: 1-line block ×3, first 2 shown]
	v_add_f64 v[24:25], v[110:111], v[114:115]
	v_add_f64 v[36:37], v[110:111], -v[114:115]
	v_add_f64 v[0:1], v[0:1], v[79:80]
	v_add_f64 v[2:3], v[2:3], v[77:78]
	v_add_f64 v[79:80], v[250:251], -v[91:92]
	v_add_f64 v[77:78], v[248:249], v[89:90]
	v_mov_b32_e32 v248, v155
	v_fma_f64 v[118:119], v[6:7], s[16:17], v[22:23]
	v_fma_f64 v[22:23], v[6:7], s[16:17], -v[22:23]
	v_mul_f64 v[246:247], v[36:37], s[50:51]
	v_add_f64 v[0:1], v[0:1], v[87:88]
	v_add_f64 v[2:3], v[2:3], v[85:86]
	v_mul_f64 v[85:86], v[8:9], s[44:45]
	v_mul_f64 v[87:88], v[8:9], s[40:41]
	v_add_f64 v[118:119], v[242:243], v[118:119]
	v_add_f64 v[144:145], v[242:243], v[22:23]
	;; [unrolled: 1-line block ×6, first 2 shown]
	v_fma_f64 v[112:113], v[6:7], s[28:29], v[14:15]
	v_fma_f64 v[14:15], v[6:7], s[28:29], -v[14:15]
	v_add_f64 v[0:1], v[0:1], v[95:96]
	v_add_f64 v[2:3], v[2:3], v[93:94]
	v_mul_f64 v[93:94], v[8:9], s[30:31]
	v_mul_f64 v[95:96], v[8:9], s[24:25]
	v_add_f64 v[136:137], v[242:243], v[14:15]
	v_mul_f64 v[14:15], v[60:61], s[44:45]
	v_add_f64 v[112:113], v[242:243], v[112:113]
	v_add_f64 v[0:1], v[0:1], v[83:84]
	;; [unrolled: 1-line block ×3, first 2 shown]
	v_mul_f64 v[83:84], v[8:9], s[48:49]
	v_mul_f64 v[81:82], v[4:5], s[18:19]
	v_add_f64 v[0:1], v[0:1], v[72:73]
	v_add_f64 v[2:3], v[2:3], v[70:71]
	v_add_f64 v[72:73], v[16:17], -v[20:21]
	v_add_f64 v[70:71], v[252:253], v[10:11]
	v_mul_f64 v[16:17], v[4:5], s[36:37]
	v_fma_f64 v[120:121], v[6:7], s[2:3], v[81:82]
	v_fma_f64 v[81:82], v[6:7], s[2:3], -v[81:82]
	v_add_f64 v[0:1], v[0:1], v[20:21]
	v_add_f64 v[2:3], v[2:3], v[18:19]
	v_add_f64 v[18:19], v[244:245], v[124:125]
	v_mul_f64 v[20:21], v[4:5], s[30:31]
	v_fma_f64 v[114:115], v[6:7], s[34:35], v[16:17]
	v_fma_f64 v[16:17], v[6:7], s[34:35], -v[16:17]
	v_mul_f64 v[244:245], v[30:31], s[50:51]
	v_add_f64 v[120:121], v[242:243], v[120:121]
	v_add_f64 v[81:82], v[242:243], v[81:82]
	;; [unrolled: 1-line block ×4, first 2 shown]
	v_mul_f64 v[10:11], v[4:5], s[48:49]
	v_mul_f64 v[12:13], v[4:5], s[44:45]
	;; [unrolled: 1-line block ×3, first 2 shown]
	v_fma_f64 v[116:117], v[6:7], s[26:27], v[20:21]
	v_fma_f64 v[20:21], v[6:7], s[26:27], -v[20:21]
	v_fma_f64 v[122:123], v[18:19], s[46:47], -v[83:84]
	v_fma_f64 v[83:84], v[18:19], s[46:47], v[83:84]
	v_fma_f64 v[128:129], v[18:19], s[26:27], -v[93:94]
	v_fma_f64 v[93:94], v[18:19], s[26:27], v[93:94]
	v_fma_f64 v[130:131], v[18:19], s[16:17], -v[95:96]
	v_fma_f64 v[95:96], v[18:19], s[16:17], v[95:96]
	v_fma_f64 v[132:133], v[18:19], s[2:3], -v[97:98]
	v_fma_f64 v[97:98], v[18:19], s[2:3], v[97:98]
	v_add_f64 v[140:141], v[242:243], v[16:17]
	v_fma_f64 v[16:17], v[58:59], s[38:39], v[14:15]
	v_add_f64 v[114:115], v[242:243], v[114:115]
	v_add_f64 v[0:1], v[0:1], v[91:92]
	v_mul_f64 v[91:92], v[8:9], s[36:37]
	v_mul_f64 v[8:9], v[8:9], s[20:21]
	v_add_f64 v[89:90], v[2:3], v[89:90]
	v_fma_f64 v[108:109], v[6:7], s[46:47], v[10:11]
	v_fma_f64 v[10:11], v[6:7], s[46:47], -v[10:11]
	v_fma_f64 v[110:111], v[6:7], s[38:39], v[12:13]
	v_fma_f64 v[12:13], v[6:7], s[38:39], -v[12:13]
	v_add_f64 v[142:143], v[242:243], v[20:21]
	v_add_f64 v[83:84], v[240:241], v[83:84]
	v_add_f64 v[128:129], v[240:241], v[128:129]
	v_add_f64 v[93:94], v[240:241], v[93:94]
	v_add_f64 v[130:131], v[240:241], v[130:131]
	v_add_f64 v[95:96], v[240:241], v[95:96]
	v_add_f64 v[132:133], v[240:241], v[132:133]
	v_add_f64 v[97:98], v[240:241], v[97:98]
	v_add_f64 v[116:117], v[242:243], v[116:117]
	v_add_f64 v[2:3], v[0:1], v[126:127]
	v_fma_f64 v[126:127], v[18:19], s[28:29], -v[87:88]
	v_fma_f64 v[134:135], v[18:19], s[0:1], -v[8:9]
	v_fma_f64 v[8:9], v[18:19], s[0:1], v[8:9]
	v_add_f64 v[0:1], v[89:90], v[124:125]
	v_fma_f64 v[124:125], v[6:7], s[0:1], v[4:5]
	v_fma_f64 v[4:5], v[6:7], s[0:1], -v[4:5]
	v_fma_f64 v[89:90], v[18:19], s[38:39], -v[85:86]
	v_fma_f64 v[85:86], v[18:19], s[38:39], v[85:86]
	v_fma_f64 v[6:7], v[18:19], s[28:29], v[87:88]
	v_fma_f64 v[87:88], v[18:19], s[34:35], -v[91:92]
	v_fma_f64 v[91:92], v[18:19], s[34:35], v[91:92]
	v_add_f64 v[18:19], v[242:243], v[108:109]
	v_add_f64 v[108:109], v[240:241], v[122:123]
	v_add_f64 v[122:123], v[242:243], v[12:13]
	v_mul_f64 v[12:13], v[79:80], s[4:5]
	v_add_f64 v[10:11], v[242:243], v[10:11]
	v_add_f64 v[110:111], v[242:243], v[110:111]
	;; [unrolled: 1-line block ×5, first 2 shown]
	v_mul_f64 v[8:9], v[68:69], s[4:5]
	v_add_f64 v[124:125], v[242:243], v[124:125]
	v_add_f64 v[146:147], v[242:243], v[4:5]
	;; [unrolled: 1-line block ×7, first 2 shown]
	v_fma_f64 v[6:7], v[77:78], s[0:1], -v[12:13]
	v_fma_f64 v[4:5], v[62:63], s[0:1], v[8:9]
	v_fma_f64 v[8:9], v[62:63], s[0:1], -v[8:9]
	v_add_f64 v[6:7], v[6:7], v[108:109]
	v_add_f64 v[4:5], v[4:5], v[18:19]
	;; [unrolled: 1-line block ×3, first 2 shown]
	v_fma_f64 v[10:11], v[77:78], s[0:1], v[12:13]
	v_fma_f64 v[12:13], v[58:59], s[38:39], -v[14:15]
	v_fma_f64 v[14:15], v[26:27], s[26:27], v[246:247]
	v_add_f64 v[4:5], v[16:17], v[4:5]
	v_mul_f64 v[16:17], v[74:75], s[44:45]
	v_add_f64 v[10:11], v[10:11], v[83:84]
	v_add_f64 v[8:9], v[12:13], v[8:9]
	v_fma_f64 v[18:19], v[70:71], s[38:39], -v[16:17]
	v_fma_f64 v[12:13], v[70:71], s[38:39], v[16:17]
	v_mul_f64 v[16:17], v[68:69], s[22:23]
	v_add_f64 v[6:7], v[18:19], v[6:7]
	v_mul_f64 v[18:19], v[54:55], s[12:13]
	v_add_f64 v[10:11], v[12:13], v[10:11]
	v_fma_f64 v[20:21], v[48:49], s[2:3], v[18:19]
	v_fma_f64 v[12:13], v[48:49], s[2:3], -v[18:19]
	v_mul_f64 v[18:19], v[79:80], s[22:23]
	v_add_f64 v[4:5], v[20:21], v[4:5]
	v_mul_f64 v[20:21], v[72:73], s[12:13]
	v_add_f64 v[8:9], v[12:13], v[8:9]
	v_fma_f64 v[22:23], v[64:65], s[2:3], -v[20:21]
	v_fma_f64 v[12:13], v[64:65], s[2:3], v[20:21]
	v_mul_f64 v[20:21], v[60:61], s[30:31]
	v_add_f64 v[6:7], v[22:23], v[6:7]
	v_mul_f64 v[22:23], v[50:51], s[40:41]
	v_add_f64 v[10:11], v[12:13], v[10:11]
	v_fma_f64 v[108:109], v[42:43], s[28:29], v[22:23]
	v_fma_f64 v[12:13], v[42:43], s[28:29], -v[22:23]
	v_fma_f64 v[22:23], v[58:59], s[26:27], v[20:21]
	v_fma_f64 v[20:21], v[58:59], s[26:27], -v[20:21]
	v_add_f64 v[4:5], v[108:109], v[4:5]
	v_mul_f64 v[108:109], v[66:67], s[40:41]
	v_add_f64 v[8:9], v[12:13], v[8:9]
	v_fma_f64 v[150:151], v[52:53], s[28:29], -v[108:109]
	v_fma_f64 v[12:13], v[52:53], s[28:29], v[108:109]
	v_add_f64 v[6:7], v[150:151], v[6:7]
	v_mul_f64 v[150:151], v[44:45], s[22:23]
	v_add_f64 v[10:11], v[12:13], v[10:11]
	v_fma_f64 v[152:153], v[34:35], s[16:17], v[150:151]
	v_fma_f64 v[12:13], v[34:35], s[16:17], -v[150:151]
	v_add_f64 v[4:5], v[152:153], v[4:5]
	v_mul_f64 v[152:153], v[56:57], s[22:23]
	v_add_f64 v[8:9], v[12:13], v[8:9]
	v_fma_f64 v[154:155], v[40:41], s[16:17], -v[152:153]
	v_fma_f64 v[12:13], v[40:41], s[16:17], v[152:153]
	v_add_f64 v[6:7], v[154:155], v[6:7]
	v_mul_f64 v[154:155], v[38:39], s[36:37]
	v_add_f64 v[10:11], v[12:13], v[10:11]
	v_fma_f64 v[240:241], v[28:29], s[34:35], v[154:155]
	v_fma_f64 v[12:13], v[28:29], s[34:35], -v[154:155]
	v_add_f64 v[4:5], v[240:241], v[4:5]
	v_mul_f64 v[240:241], v[46:47], s[36:37]
	v_add_f64 v[8:9], v[12:13], v[8:9]
	v_fma_f64 v[12:13], v[32:33], s[34:35], v[240:241]
	v_fma_f64 v[242:243], v[32:33], s[34:35], -v[240:241]
	v_add_f64 v[12:13], v[12:13], v[10:11]
	v_fma_f64 v[10:11], v[24:25], s[26:27], -v[244:245]
	v_add_f64 v[242:243], v[242:243], v[6:7]
	v_fma_f64 v[6:7], v[24:25], s[26:27], v[244:245]
	v_mul_f64 v[244:245], v[30:31], s[36:37]
	v_add_f64 v[10:11], v[10:11], v[8:9]
	v_add_f64 v[8:9], v[14:15], v[12:13]
	v_fma_f64 v[12:13], v[62:63], s[16:17], v[16:17]
	v_fma_f64 v[14:15], v[77:78], s[16:17], -v[18:19]
	v_fma_f64 v[16:17], v[62:63], s[16:17], -v[16:17]
	v_fma_f64 v[18:19], v[77:78], s[16:17], v[18:19]
	v_add_f64 v[6:7], v[6:7], v[4:5]
	v_fma_f64 v[4:5], v[26:27], s[26:27], -v[246:247]
	v_mul_f64 v[246:247], v[36:37], s[36:37]
	v_add_f64 v[12:13], v[12:13], v[110:111]
	v_add_f64 v[14:15], v[14:15], v[89:90]
	;; [unrolled: 1-line block ×4, first 2 shown]
	v_mul_f64 v[85:86], v[79:80], s[42:43]
	v_add_f64 v[4:5], v[4:5], v[242:243]
	v_add_f64 v[12:13], v[22:23], v[12:13]
	v_mul_f64 v[22:23], v[74:75], s[30:31]
	v_add_f64 v[16:17], v[20:21], v[16:17]
	v_fma_f64 v[83:84], v[70:71], s[26:27], -v[22:23]
	v_fma_f64 v[20:21], v[70:71], s[26:27], v[22:23]
	v_fma_f64 v[22:23], v[26:27], s[34:35], v[246:247]
	v_add_f64 v[14:15], v[83:84], v[14:15]
	v_mul_f64 v[83:84], v[54:55], s[54:55]
	v_add_f64 v[18:19], v[20:21], v[18:19]
	v_fma_f64 v[89:90], v[48:49], s[28:29], v[83:84]
	v_fma_f64 v[20:21], v[48:49], s[28:29], -v[83:84]
	v_mul_f64 v[83:84], v[68:69], s[42:43]
	v_add_f64 v[12:13], v[89:90], v[12:13]
	v_mul_f64 v[89:90], v[72:73], s[54:55]
	v_add_f64 v[16:17], v[20:21], v[16:17]
	v_fma_f64 v[108:109], v[64:65], s[28:29], -v[89:90]
	v_fma_f64 v[20:21], v[64:65], s[28:29], v[89:90]
	v_mul_f64 v[89:90], v[60:61], s[20:21]
	v_add_f64 v[14:15], v[108:109], v[14:15]
	v_mul_f64 v[108:109], v[50:51], s[20:21]
	v_add_f64 v[18:19], v[20:21], v[18:19]
	v_fma_f64 v[110:111], v[42:43], s[0:1], v[108:109]
	v_fma_f64 v[20:21], v[42:43], s[0:1], -v[108:109]
	v_fma_f64 v[108:109], v[58:59], s[0:1], v[89:90]
	v_fma_f64 v[89:90], v[58:59], s[0:1], -v[89:90]
	v_add_f64 v[12:13], v[110:111], v[12:13]
	v_mul_f64 v[110:111], v[66:67], s[20:21]
	v_add_f64 v[16:17], v[20:21], v[16:17]
	v_fma_f64 v[150:151], v[52:53], s[0:1], -v[110:111]
	v_fma_f64 v[20:21], v[52:53], s[0:1], v[110:111]
	v_add_f64 v[14:15], v[150:151], v[14:15]
	v_mul_f64 v[150:151], v[44:45], s[48:49]
	v_add_f64 v[18:19], v[20:21], v[18:19]
	v_fma_f64 v[152:153], v[34:35], s[46:47], v[150:151]
	v_fma_f64 v[20:21], v[34:35], s[46:47], -v[150:151]
	v_add_f64 v[12:13], v[152:153], v[12:13]
	v_mul_f64 v[152:153], v[56:57], s[48:49]
	v_add_f64 v[16:17], v[20:21], v[16:17]
	v_fma_f64 v[154:155], v[40:41], s[46:47], -v[152:153]
	v_fma_f64 v[20:21], v[40:41], s[46:47], v[152:153]
	v_add_f64 v[14:15], v[154:155], v[14:15]
	v_mul_f64 v[154:155], v[38:39], s[12:13]
	v_add_f64 v[18:19], v[20:21], v[18:19]
	v_fma_f64 v[240:241], v[28:29], s[2:3], v[154:155]
	v_fma_f64 v[20:21], v[28:29], s[2:3], -v[154:155]
	v_add_f64 v[12:13], v[240:241], v[12:13]
	v_mul_f64 v[240:241], v[46:47], s[12:13]
	v_add_f64 v[16:17], v[20:21], v[16:17]
	v_fma_f64 v[20:21], v[32:33], s[2:3], v[240:241]
	v_fma_f64 v[242:243], v[32:33], s[2:3], -v[240:241]
	v_add_f64 v[20:21], v[20:21], v[18:19]
	v_fma_f64 v[18:19], v[24:25], s[34:35], -v[244:245]
	v_add_f64 v[242:243], v[242:243], v[14:15]
	v_fma_f64 v[14:15], v[24:25], s[34:35], v[244:245]
	v_mul_f64 v[244:245], v[30:31], s[22:23]
	v_add_f64 v[18:19], v[18:19], v[16:17]
	v_add_f64 v[16:17], v[22:23], v[20:21]
	v_fma_f64 v[20:21], v[62:63], s[34:35], v[83:84]
	v_fma_f64 v[22:23], v[77:78], s[34:35], -v[85:86]
	v_fma_f64 v[83:84], v[62:63], s[34:35], -v[83:84]
	v_fma_f64 v[85:86], v[77:78], s[34:35], v[85:86]
	v_add_f64 v[14:15], v[14:15], v[12:13]
	v_fma_f64 v[12:13], v[26:27], s[34:35], -v[246:247]
	v_mul_f64 v[246:247], v[36:37], s[22:23]
	v_add_f64 v[20:21], v[20:21], v[112:113]
	v_add_f64 v[22:23], v[22:23], v[126:127]
	;; [unrolled: 1-line block ×6, first 2 shown]
	v_mul_f64 v[108:109], v[74:75], s[20:21]
	v_add_f64 v[83:84], v[89:90], v[83:84]
	v_fma_f64 v[110:111], v[70:71], s[0:1], -v[108:109]
	v_add_f64 v[22:23], v[110:111], v[22:23]
	v_mul_f64 v[110:111], v[54:55], s[44:45]
	v_fma_f64 v[112:113], v[48:49], s[38:39], v[110:111]
	v_fma_f64 v[89:90], v[48:49], s[38:39], -v[110:111]
	v_mul_f64 v[110:111], v[60:61], s[12:13]
	v_add_f64 v[20:21], v[112:113], v[20:21]
	v_mul_f64 v[112:113], v[72:73], s[44:45]
	v_add_f64 v[83:84], v[89:90], v[83:84]
	v_fma_f64 v[122:123], v[64:65], s[38:39], -v[112:113]
	v_add_f64 v[22:23], v[122:123], v[22:23]
	v_mul_f64 v[122:123], v[50:51], s[50:51]
	v_fma_f64 v[126:127], v[42:43], s[26:27], v[122:123]
	v_fma_f64 v[89:90], v[42:43], s[26:27], -v[122:123]
	v_add_f64 v[20:21], v[126:127], v[20:21]
	v_mul_f64 v[126:127], v[66:67], s[50:51]
	v_add_f64 v[83:84], v[89:90], v[83:84]
	v_fma_f64 v[150:151], v[52:53], s[26:27], -v[126:127]
	v_add_f64 v[22:23], v[150:151], v[22:23]
	v_mul_f64 v[150:151], v[44:45], s[18:19]
	v_fma_f64 v[152:153], v[34:35], s[2:3], v[150:151]
	v_fma_f64 v[89:90], v[34:35], s[2:3], -v[150:151]
	v_add_f64 v[20:21], v[152:153], v[20:21]
	v_mul_f64 v[152:153], v[56:57], s[18:19]
	v_add_f64 v[83:84], v[89:90], v[83:84]
	v_fma_f64 v[154:155], v[40:41], s[2:3], -v[152:153]
	v_add_f64 v[22:23], v[154:155], v[22:23]
	v_mul_f64 v[154:155], v[38:39], s[48:49]
	v_fma_f64 v[89:90], v[28:29], s[46:47], -v[154:155]
	v_fma_f64 v[240:241], v[28:29], s[46:47], v[154:155]
	v_add_f64 v[83:84], v[89:90], v[83:84]
	v_fma_f64 v[89:90], v[70:71], s[0:1], v[108:109]
	v_add_f64 v[20:21], v[240:241], v[20:21]
	v_mul_f64 v[240:241], v[46:47], s[48:49]
	v_add_f64 v[85:86], v[89:90], v[85:86]
	v_fma_f64 v[89:90], v[64:65], s[38:39], v[112:113]
	v_fma_f64 v[112:113], v[58:59], s[2:3], v[110:111]
	v_fma_f64 v[110:111], v[58:59], s[2:3], -v[110:111]
	v_fma_f64 v[242:243], v[32:33], s[46:47], -v[240:241]
	v_add_f64 v[85:86], v[89:90], v[85:86]
	v_fma_f64 v[89:90], v[52:53], s[26:27], v[126:127]
	v_add_f64 v[242:243], v[242:243], v[22:23]
	v_fma_f64 v[22:23], v[24:25], s[16:17], v[244:245]
	;; [unrolled: 2-line block ×3, first 2 shown]
	v_add_f64 v[22:23], v[22:23], v[20:21]
	v_fma_f64 v[20:21], v[26:27], s[16:17], -v[246:247]
	v_add_f64 v[85:86], v[89:90], v[85:86]
	v_fma_f64 v[89:90], v[32:33], s[46:47], v[240:241]
	v_add_f64 v[20:21], v[20:21], v[242:243]
	v_add_f64 v[85:86], v[89:90], v[85:86]
	v_mul_f64 v[89:90], v[68:69], s[52:53]
	v_fma_f64 v[108:109], v[62:63], s[38:39], v[89:90]
	v_fma_f64 v[89:90], v[62:63], s[38:39], -v[89:90]
	v_add_f64 v[108:109], v[108:109], v[114:115]
	v_add_f64 v[89:90], v[89:90], v[140:141]
	;; [unrolled: 1-line block ×3, first 2 shown]
	v_mul_f64 v[112:113], v[54:55], s[24:25]
	v_add_f64 v[89:90], v[110:111], v[89:90]
	v_fma_f64 v[114:115], v[48:49], s[16:17], v[112:113]
	v_fma_f64 v[110:111], v[48:49], s[16:17], -v[112:113]
	v_add_f64 v[108:109], v[114:115], v[108:109]
	v_mul_f64 v[114:115], v[50:51], s[48:49]
	v_add_f64 v[89:90], v[110:111], v[89:90]
	v_fma_f64 v[122:123], v[42:43], s[46:47], v[114:115]
	v_fma_f64 v[110:111], v[42:43], s[46:47], -v[114:115]
	v_mul_f64 v[114:115], v[60:61], s[42:43]
	v_add_f64 v[108:109], v[122:123], v[108:109]
	v_mul_f64 v[122:123], v[44:45], s[50:51]
	v_add_f64 v[89:90], v[110:111], v[89:90]
	v_fma_f64 v[126:127], v[34:35], s[26:27], v[122:123]
	v_fma_f64 v[110:111], v[34:35], s[26:27], -v[122:123]
	v_add_f64 v[108:109], v[126:127], v[108:109]
	v_mul_f64 v[126:127], v[38:39], s[20:21]
	v_add_f64 v[89:90], v[110:111], v[89:90]
	v_fma_f64 v[136:137], v[28:29], s[0:1], v[126:127]
	v_fma_f64 v[110:111], v[28:29], s[0:1], -v[126:127]
	v_add_f64 v[108:109], v[136:137], v[108:109]
	v_mul_f64 v[136:137], v[79:80], s[52:53]
	v_add_f64 v[89:90], v[110:111], v[89:90]
	v_fma_f64 v[138:139], v[77:78], s[38:39], -v[136:137]
	v_fma_f64 v[110:111], v[77:78], s[38:39], v[136:137]
	v_add_f64 v[87:88], v[138:139], v[87:88]
	v_mul_f64 v[138:139], v[74:75], s[12:13]
	v_add_f64 v[91:92], v[110:111], v[91:92]
	v_fma_f64 v[150:151], v[70:71], s[2:3], -v[138:139]
	v_fma_f64 v[110:111], v[70:71], s[2:3], v[138:139]
	;; [unrolled: 5-line block ×5, first 2 shown]
	v_add_f64 v[87:88], v[240:241], v[87:88]
	v_mul_f64 v[240:241], v[46:47], s[20:21]
	v_add_f64 v[91:92], v[110:111], v[91:92]
	v_fma_f64 v[110:111], v[32:33], s[0:1], v[240:241]
	v_fma_f64 v[242:243], v[32:33], s[0:1], -v[240:241]
	v_add_f64 v[91:92], v[110:111], v[91:92]
	v_mul_f64 v[110:111], v[68:69], s[48:49]
	v_add_f64 v[87:88], v[242:243], v[87:88]
	v_fma_f64 v[112:113], v[62:63], s[46:47], v[110:111]
	v_fma_f64 v[110:111], v[62:63], s[46:47], -v[110:111]
	v_add_f64 v[112:113], v[112:113], v[116:117]
	v_fma_f64 v[116:117], v[58:59], s[34:35], v[114:115]
	v_add_f64 v[110:111], v[110:111], v[142:143]
	v_fma_f64 v[114:115], v[58:59], s[34:35], -v[114:115]
	v_add_f64 v[112:113], v[116:117], v[112:113]
	v_mul_f64 v[116:117], v[54:55], s[4:5]
	v_add_f64 v[110:111], v[114:115], v[110:111]
	v_fma_f64 v[122:123], v[48:49], s[0:1], v[116:117]
	v_fma_f64 v[114:115], v[48:49], s[0:1], -v[116:117]
	v_add_f64 v[112:113], v[122:123], v[112:113]
	v_mul_f64 v[122:123], v[50:51], s[24:25]
	v_add_f64 v[110:111], v[114:115], v[110:111]
	v_fma_f64 v[126:127], v[42:43], s[16:17], v[122:123]
	;; [unrolled: 5-line block ×4, first 2 shown]
	v_fma_f64 v[114:115], v[28:29], s[28:29], -v[136:137]
	v_add_f64 v[112:113], v[138:139], v[112:113]
	v_mul_f64 v[138:139], v[79:80], s[48:49]
	v_add_f64 v[110:111], v[114:115], v[110:111]
	v_fma_f64 v[140:141], v[77:78], s[46:47], -v[138:139]
	v_fma_f64 v[114:115], v[77:78], s[46:47], v[138:139]
	v_add_f64 v[128:129], v[140:141], v[128:129]
	v_mul_f64 v[140:141], v[74:75], s[42:43]
	v_add_f64 v[93:94], v[114:115], v[93:94]
	v_fma_f64 v[150:151], v[70:71], s[34:35], -v[140:141]
	v_fma_f64 v[114:115], v[70:71], s[34:35], v[140:141]
	;; [unrolled: 5-line block ×5, first 2 shown]
	v_add_f64 v[128:129], v[240:241], v[128:129]
	v_mul_f64 v[240:241], v[46:47], s[54:55]
	v_add_f64 v[93:94], v[114:115], v[93:94]
	v_fma_f64 v[114:115], v[32:33], s[28:29], v[240:241]
	v_fma_f64 v[242:243], v[32:33], s[28:29], -v[240:241]
	v_add_f64 v[93:94], v[114:115], v[93:94]
	v_mul_f64 v[114:115], v[68:69], s[40:41]
	v_add_f64 v[128:129], v[242:243], v[128:129]
	v_fma_f64 v[116:117], v[62:63], s[28:29], v[114:115]
	v_fma_f64 v[114:115], v[62:63], s[28:29], -v[114:115]
	;; [unrolled: 5-line block ×7, first 2 shown]
	v_add_f64 v[116:117], v[140:141], v[116:117]
	v_mul_f64 v[140:141], v[79:80], s[40:41]
	v_add_f64 v[114:115], v[118:119], v[114:115]
	v_fma_f64 v[142:143], v[77:78], s[28:29], -v[140:141]
	v_fma_f64 v[118:119], v[77:78], s[28:29], v[140:141]
	v_add_f64 v[130:131], v[142:143], v[130:131]
	v_mul_f64 v[142:143], v[74:75], s[56:57]
	v_add_f64 v[95:96], v[118:119], v[95:96]
	v_fma_f64 v[150:151], v[70:71], s[46:47], -v[142:143]
	v_fma_f64 v[118:119], v[70:71], s[46:47], v[142:143]
	;; [unrolled: 5-line block ×4, first 2 shown]
	v_add_f64 v[130:131], v[154:155], v[130:131]
	v_mul_f64 v[154:155], v[56:57], s[20:21]
	v_add_f64 v[95:96], v[118:119], v[95:96]
	v_fma_f64 v[118:119], v[40:41], s[0:1], v[154:155]
	v_fma_f64 v[240:241], v[40:41], s[0:1], -v[154:155]
	v_mov_b32_e32 v155, v248
	v_mov_b32_e32 v154, v99
	v_add_f64 v[95:96], v[118:119], v[95:96]
	v_mul_f64 v[118:119], v[68:69], s[30:31]
	v_mul_f64 v[68:69], v[68:69], s[18:19]
	v_add_f64 v[130:131], v[240:241], v[130:131]
	v_mul_f64 v[240:241], v[46:47], s[30:31]
	v_fma_f64 v[122:123], v[62:63], s[26:27], v[118:119]
	v_fma_f64 v[118:119], v[62:63], s[26:27], -v[118:119]
	v_fma_f64 v[242:243], v[32:33], s[26:27], -v[240:241]
	v_add_f64 v[120:121], v[122:123], v[120:121]
	v_mul_f64 v[122:123], v[60:61], s[40:41]
	v_add_f64 v[81:82], v[118:119], v[81:82]
	v_mul_f64 v[60:61], v[60:61], s[24:25]
	v_add_f64 v[130:131], v[242:243], v[130:131]
	v_fma_f64 v[126:127], v[58:59], s[28:29], v[122:123]
	v_fma_f64 v[118:119], v[58:59], s[28:29], -v[122:123]
	v_fma_f64 v[122:123], v[24:25], s[16:17], -v[244:245]
	v_add_f64 v[120:121], v[126:127], v[120:121]
	v_mul_f64 v[126:127], v[54:55], s[48:49]
	v_add_f64 v[81:82], v[118:119], v[81:82]
	v_mul_f64 v[54:55], v[54:55], s[30:31]
	v_fma_f64 v[136:137], v[48:49], s[46:47], v[126:127]
	v_fma_f64 v[118:119], v[48:49], s[46:47], -v[126:127]
	v_add_f64 v[120:121], v[136:137], v[120:121]
	v_mul_f64 v[136:137], v[50:51], s[52:53]
	v_add_f64 v[81:82], v[118:119], v[81:82]
	v_mul_f64 v[50:51], v[50:51], s[36:37]
	v_fma_f64 v[138:139], v[42:43], s[38:39], v[136:137]
	v_fma_f64 v[118:119], v[42:43], s[38:39], -v[136:137]
	v_add_f64 v[120:121], v[138:139], v[120:121]
	v_mul_f64 v[138:139], v[79:80], s[30:31]
	v_add_f64 v[81:82], v[118:119], v[81:82]
	v_fma_f64 v[140:141], v[77:78], s[26:27], -v[138:139]
	v_fma_f64 v[118:119], v[77:78], s[26:27], v[138:139]
	v_add_f64 v[132:133], v[140:141], v[132:133]
	v_mul_f64 v[140:141], v[74:75], s[40:41]
	v_add_f64 v[97:98], v[118:119], v[97:98]
	v_mul_f64 v[74:75], v[74:75], s[24:25]
	v_fma_f64 v[142:143], v[70:71], s[28:29], -v[140:141]
	v_fma_f64 v[118:119], v[70:71], s[28:29], v[140:141]
	v_add_f64 v[132:133], v[142:143], v[132:133]
	v_mul_f64 v[142:143], v[72:73], s[48:49]
	v_add_f64 v[97:98], v[118:119], v[97:98]
	v_mul_f64 v[72:73], v[72:73], s[30:31]
	;; [unrolled: 6-line block ×3, first 2 shown]
	v_fma_f64 v[118:119], v[52:53], s[38:39], v[144:145]
	v_fma_f64 v[150:151], v[52:53], s[38:39], -v[144:145]
	v_add_f64 v[97:98], v[118:119], v[97:98]
	v_fma_f64 v[118:119], v[62:63], s[2:3], v[68:69]
	v_fma_f64 v[62:63], v[62:63], s[2:3], -v[68:69]
	v_fma_f64 v[68:69], v[58:59], s[16:17], v[60:61]
	v_fma_f64 v[58:59], v[58:59], s[16:17], -v[60:61]
	v_add_f64 v[132:133], v[150:151], v[132:133]
	v_add_f64 v[118:119], v[118:119], v[124:125]
	;; [unrolled: 1-line block ×3, first 2 shown]
	v_mul_f64 v[62:63], v[79:80], s[18:19]
	v_fma_f64 v[124:125], v[26:27], s[16:17], v[246:247]
	v_add_f64 v[68:69], v[68:69], v[118:119]
	v_add_f64 v[58:59], v[58:59], v[60:61]
	v_fma_f64 v[79:80], v[77:78], s[2:3], -v[62:63]
	v_fma_f64 v[62:63], v[77:78], s[2:3], v[62:63]
	v_fma_f64 v[77:78], v[70:71], s[16:17], v[74:75]
	v_fma_f64 v[70:71], v[70:71], s[16:17], -v[74:75]
	v_fma_f64 v[74:75], v[48:49], s[26:27], -v[54:55]
	v_mul_f64 v[60:61], v[44:45], s[42:43]
	v_fma_f64 v[48:49], v[48:49], s[26:27], v[54:55]
	v_mul_f64 v[54:55], v[56:57], s[42:43]
	v_mul_f64 v[56:57], v[56:57], s[40:41]
	v_fma_f64 v[118:119], v[32:33], s[26:27], v[240:241]
	v_mul_f64 v[44:45], v[44:45], s[40:41]
	v_add_f64 v[79:80], v[79:80], v[134:135]
	v_add_f64 v[62:63], v[62:63], v[148:149]
	;; [unrolled: 1-line block ×3, first 2 shown]
	v_fma_f64 v[74:75], v[52:53], s[34:35], v[66:67]
	v_add_f64 v[48:49], v[48:49], v[68:69]
	v_mul_f64 v[68:69], v[46:47], s[22:23]
	v_fma_f64 v[52:53], v[52:53], s[34:35], -v[66:67]
	v_add_f64 v[95:96], v[118:119], v[95:96]
	v_fma_f64 v[66:67], v[34:35], s[28:29], -v[44:45]
	v_mul_f64 v[46:47], v[46:47], s[44:45]
	v_mul_f64 v[118:119], v[36:37], s[4:5]
	v_add_f64 v[70:71], v[70:71], v[79:80]
	v_add_f64 v[62:63], v[77:78], v[62:63]
	v_fma_f64 v[77:78], v[64:65], s[26:27], v[72:73]
	v_fma_f64 v[64:65], v[64:65], s[26:27], -v[72:73]
	v_fma_f64 v[72:73], v[34:35], s[34:35], v[60:61]
	v_fma_f64 v[79:80], v[42:43], s[34:35], -v[50:51]
	v_fma_f64 v[60:61], v[34:35], s[34:35], -v[60:61]
	v_fma_f64 v[42:43], v[42:43], s[34:35], v[50:51]
	v_mul_f64 v[50:51], v[38:39], s[22:23]
	v_fma_f64 v[34:35], v[34:35], s[28:29], v[44:45]
	v_mul_f64 v[38:39], v[38:39], s[44:45]
	v_mul_f64 v[44:45], v[30:31], s[40:41]
	v_add_f64 v[62:63], v[77:78], v[62:63]
	v_fma_f64 v[77:78], v[40:41], s[34:35], -v[54:55]
	v_fma_f64 v[54:55], v[40:41], s[34:35], v[54:55]
	v_add_f64 v[64:65], v[64:65], v[70:71]
	v_fma_f64 v[70:71], v[40:41], s[28:29], v[56:57]
	v_add_f64 v[58:59], v[79:80], v[58:59]
	v_add_f64 v[72:73], v[72:73], v[120:121]
	;; [unrolled: 1-line block ×4, first 2 shown]
	v_fma_f64 v[48:49], v[28:29], s[16:17], v[50:51]
	v_mul_f64 v[79:80], v[36:37], s[40:41]
	v_fma_f64 v[50:51], v[28:29], s[16:17], -v[50:51]
	v_fma_f64 v[40:41], v[40:41], s[28:29], -v[56:57]
	v_mul_f64 v[120:121], v[36:37], s[44:45]
	v_mul_f64 v[81:82], v[30:31], s[12:13]
	;; [unrolled: 1-line block ×3, first 2 shown]
	v_add_f64 v[62:63], v[74:75], v[62:63]
	v_add_f64 v[74:75], v[77:78], v[132:133]
	v_fma_f64 v[77:78], v[32:33], s[16:17], -v[68:69]
	v_fma_f64 v[68:69], v[32:33], s[16:17], v[68:69]
	v_add_f64 v[54:55], v[54:55], v[97:98]
	v_add_f64 v[52:53], v[52:53], v[64:65]
	;; [unrolled: 1-line block ×3, first 2 shown]
	v_fma_f64 v[66:67], v[32:33], s[38:39], v[46:47]
	v_add_f64 v[34:35], v[34:35], v[42:43]
	v_fma_f64 v[32:33], v[32:33], s[38:39], -v[46:47]
	v_mul_f64 v[97:98], v[30:31], s[44:45]
	v_add_f64 v[42:43], v[50:51], v[60:61]
	v_mul_f64 v[30:31], v[30:31], s[48:49]
	v_fma_f64 v[64:65], v[28:29], s[38:39], -v[38:39]
	v_fma_f64 v[28:29], v[28:29], s[38:39], v[38:39]
	v_add_f64 v[72:73], v[48:49], v[72:73]
	v_fma_f64 v[48:49], v[24:25], s[28:29], v[44:45]
	v_fma_f64 v[38:39], v[24:25], s[28:29], -v[44:45]
	v_fma_f64 v[44:45], v[24:25], s[2:3], -v[81:82]
	v_fma_f64 v[81:82], v[24:25], s[2:3], v[81:82]
	v_fma_f64 v[134:135], v[24:25], s[0:1], v[56:57]
	v_add_f64 v[62:63], v[70:71], v[62:63]
	v_mul_f64 v[70:71], v[36:37], s[48:49]
	v_mul_f64 v[36:37], v[36:37], s[12:13]
	v_add_f64 v[74:75], v[77:78], v[74:75]
	v_add_f64 v[50:51], v[68:69], v[54:55]
	;; [unrolled: 1-line block ×3, first 2 shown]
	v_fma_f64 v[52:53], v[24:25], s[0:1], -v[56:57]
	v_fma_f64 v[77:78], v[26:27], s[28:29], v[79:80]
	v_fma_f64 v[79:80], v[26:27], s[28:29], -v[79:80]
	v_fma_f64 v[56:57], v[26:27], s[38:39], -v[120:121]
	;; [unrolled: 1-line block ×3, first 2 shown]
	v_fma_f64 v[97:98], v[24:25], s[38:39], v[97:98]
	v_fma_f64 v[54:55], v[24:25], s[46:47], -v[30:31]
	v_add_f64 v[58:59], v[64:65], v[58:59]
	v_fma_f64 v[64:65], v[26:27], s[0:1], v[118:119]
	v_fma_f64 v[118:119], v[26:27], s[0:1], -v[118:119]
	v_add_f64 v[126:127], v[28:29], v[34:35]
	v_add_f64 v[34:35], v[44:45], v[110:111]
	;; [unrolled: 1-line block ×3, first 2 shown]
	v_fma_f64 v[62:63], v[26:27], s[46:47], v[70:71]
	v_fma_f64 v[68:69], v[26:27], s[2:3], v[36:37]
	;; [unrolled: 1-line block ×3, first 2 shown]
	v_fma_f64 v[132:133], v[26:27], s[2:3], -v[36:37]
	v_add_f64 v[136:137], v[32:33], v[40:41]
	v_fma_f64 v[120:121], v[24:25], s[46:47], v[30:31]
	v_fma_f64 v[70:71], v[26:27], s[46:47], -v[70:71]
	v_add_f64 v[30:31], v[38:39], v[89:90]
	v_add_f64 v[42:43], v[52:53], v[42:43]
	;; [unrolled: 1-line block ×15, first 2 shown]
	s_clause 0x1
	buffer_load_dword v68, off, s[60:63], 0 offset:520
	buffer_load_dword v69, off, s[60:63], 0 offset:524
	v_add_f64 v[36:37], v[66:67], v[95:96]
	v_add_f64 v[52:53], v[132:133], v[128:129]
	;; [unrolled: 1-line block ×6, first 2 shown]
	s_waitcnt vmcnt(0)
	v_lshl_add_u32 v68, v69, 4, v68
	ds_write_b128 v68, v[0:3]
	ds_write_b128 v68, v[44:47] offset:16
	ds_write_b128 v68, v[40:43] offset:32
	;; [unrolled: 1-line block ×16, first 2 shown]
.LBB0_13:
	s_or_b32 exec_lo, exec_lo, s33
	s_waitcnt lgkmcnt(0)
	s_barrier
	buffer_gl0_inv
	ds_read_b128 v[0:3], v76 offset:1904
	ds_read_b128 v[4:7], v76 offset:1632
	s_mov_b32 s0, 0xe8584caa
	s_mov_b32 s1, 0xbfebb67a
	;; [unrolled: 1-line block ×18, first 2 shown]
	s_waitcnt lgkmcnt(1)
	v_mul_f64 v[8:9], v[106:107], v[2:3]
	s_mov_b32 s27, 0x3fd5d0dc
	s_mov_b32 s26, s20
	v_fma_f64 v[16:17], v[104:105], v[0:1], v[8:9]
	v_mul_f64 v[0:1], v[106:107], v[0:1]
	v_fma_f64 v[18:19], v[104:105], v[2:3], -v[0:1]
	ds_read_b128 v[0:3], v76 offset:2176
	ds_read_b128 v[8:11], v76 offset:2448
	s_waitcnt lgkmcnt(1)
	v_mul_f64 v[12:13], v[106:107], v[2:3]
	v_fma_f64 v[20:21], v[104:105], v[0:1], v[12:13]
	v_mul_f64 v[0:1], v[106:107], v[0:1]
	v_fma_f64 v[22:23], v[104:105], v[2:3], -v[0:1]
	ds_read_b128 v[0:3], v76 offset:3808
	ds_read_b128 v[12:15], v76 offset:4080
	s_waitcnt lgkmcnt(1)
	v_mul_f64 v[24:25], v[102:103], v[2:3]
	v_fma_f64 v[24:25], v[100:101], v[0:1], v[24:25]
	v_mul_f64 v[0:1], v[102:103], v[0:1]
	v_fma_f64 v[26:27], v[100:101], v[2:3], -v[0:1]
	s_waitcnt lgkmcnt(0)
	v_mul_f64 v[0:1], v[102:103], v[14:15]
	v_fma_f64 v[28:29], v[100:101], v[12:13], v[0:1]
	v_mul_f64 v[0:1], v[102:103], v[12:13]
	v_fma_f64 v[30:31], v[100:101], v[14:15], -v[0:1]
	s_clause 0x3
	buffer_load_dword v12, off, s[60:63], 0 offset:544
	buffer_load_dword v13, off, s[60:63], 0 offset:548
	;; [unrolled: 1-line block ×4, first 2 shown]
	s_waitcnt vmcnt(0)
	v_mul_f64 v[0:1], v[14:15], v[10:11]
	v_fma_f64 v[36:37], v[12:13], v[8:9], v[0:1]
	v_mul_f64 v[0:1], v[14:15], v[8:9]
	v_fma_f64 v[38:39], v[12:13], v[10:11], -v[0:1]
	ds_read_b128 v[0:3], v76 offset:4352
	ds_read_b128 v[8:11], v76 offset:4624
	s_clause 0x3
	buffer_load_dword v32, off, s[60:63], 0 offset:528
	buffer_load_dword v33, off, s[60:63], 0 offset:532
	;; [unrolled: 1-line block ×4, first 2 shown]
	s_waitcnt vmcnt(0) lgkmcnt(1)
	v_mul_f64 v[12:13], v[34:35], v[2:3]
	v_fma_f64 v[40:41], v[32:33], v[0:1], v[12:13]
	v_mul_f64 v[0:1], v[34:35], v[0:1]
	v_fma_f64 v[42:43], v[32:33], v[2:3], -v[0:1]
	ds_read_b128 v[0:3], v76 offset:2720
	ds_read_b128 v[12:15], v76 offset:2992
	s_clause 0x3
	buffer_load_dword v44, off, s[60:63], 0 offset:576
	buffer_load_dword v45, off, s[60:63], 0 offset:580
	;; [unrolled: 1-line block ×4, first 2 shown]
	s_waitcnt vmcnt(0) lgkmcnt(1)
	v_mul_f64 v[32:33], v[46:47], v[2:3]
	v_fma_f64 v[52:53], v[44:45], v[0:1], v[32:33]
	s_clause 0x3
	buffer_load_dword v32, off, s[60:63], 0 offset:560
	buffer_load_dword v33, off, s[60:63], 0 offset:564
	;; [unrolled: 1-line block ×4, first 2 shown]
	v_mul_f64 v[0:1], v[46:47], v[0:1]
	v_add_f64 v[46:47], v[38:39], v[42:43]
	v_fma_f64 v[54:55], v[44:45], v[2:3], -v[0:1]
	v_add_f64 v[44:45], v[36:37], v[40:41]
	s_waitcnt vmcnt(0)
	v_mul_f64 v[0:1], v[34:35], v[10:11]
	v_fma_f64 v[56:57], v[32:33], v[8:9], v[0:1]
	v_mul_f64 v[0:1], v[34:35], v[8:9]
	v_fma_f64 v[58:59], v[32:33], v[10:11], -v[0:1]
	s_clause 0x3
	buffer_load_dword v8, off, s[60:63], 0 offset:608
	buffer_load_dword v9, off, s[60:63], 0 offset:612
	;; [unrolled: 1-line block ×4, first 2 shown]
	s_waitcnt vmcnt(0) lgkmcnt(0)
	v_mul_f64 v[0:1], v[10:11], v[14:15]
	v_fma_f64 v[60:61], v[8:9], v[12:13], v[0:1]
	v_mul_f64 v[0:1], v[10:11], v[12:13]
	v_fma_f64 v[62:63], v[8:9], v[14:15], -v[0:1]
	ds_read_b128 v[0:3], v76 offset:4896
	ds_read_b128 v[8:11], v76 offset:5168
	s_clause 0x3
	buffer_load_dword v32, off, s[60:63], 0 offset:592
	buffer_load_dword v33, off, s[60:63], 0 offset:596
	;; [unrolled: 1-line block ×4, first 2 shown]
	s_waitcnt vmcnt(0) lgkmcnt(1)
	v_mul_f64 v[12:13], v[34:35], v[2:3]
	v_fma_f64 v[64:65], v[32:33], v[0:1], v[12:13]
	v_mul_f64 v[0:1], v[34:35], v[0:1]
	v_fma_f64 v[66:67], v[32:33], v[2:3], -v[0:1]
	ds_read_b128 v[0:3], v76 offset:3264
	ds_read_b128 v[12:15], v76 offset:3536
	s_waitcnt lgkmcnt(1)
	v_mul_f64 v[32:33], v[158:159], v[2:3]
	v_fma_f64 v[68:69], v[156:157], v[0:1], v[32:33]
	s_clause 0x3
	buffer_load_dword v32, off, s[60:63], 0 offset:624
	buffer_load_dword v33, off, s[60:63], 0 offset:628
	;; [unrolled: 1-line block ×4, first 2 shown]
	v_mul_f64 v[0:1], v[158:159], v[0:1]
	v_fma_f64 v[70:71], v[156:157], v[2:3], -v[0:1]
	s_waitcnt vmcnt(0)
	v_mul_f64 v[0:1], v[34:35], v[10:11]
	v_fma_f64 v[72:73], v[32:33], v[8:9], v[0:1]
	v_mul_f64 v[0:1], v[34:35], v[8:9]
	v_fma_f64 v[74:75], v[32:33], v[10:11], -v[0:1]
	s_waitcnt lgkmcnt(0)
	v_mul_f64 v[0:1], v[166:167], v[14:15]
	v_fma_f64 v[77:78], v[164:165], v[12:13], v[0:1]
	v_mul_f64 v[0:1], v[166:167], v[12:13]
	v_add_f64 v[12:13], v[16:17], v[24:25]
	v_fma_f64 v[79:80], v[164:165], v[14:15], -v[0:1]
	ds_read_b128 v[0:3], v76 offset:5440
	s_waitcnt lgkmcnt(0)
	v_mul_f64 v[8:9], v[162:163], v[2:3]
	v_fma_f64 v[81:82], v[160:161], v[0:1], v[8:9]
	v_mul_f64 v[0:1], v[162:163], v[0:1]
	v_fma_f64 v[83:84], v[160:161], v[2:3], -v[0:1]
	ds_read_b128 v[0:3], v76
	ds_read_b128 v[8:11], v76 offset:272
	s_waitcnt lgkmcnt(1)
	v_fma_f64 v[14:15], v[12:13], -0.5, v[0:1]
	v_add_f64 v[12:13], v[18:19], v[26:27]
	v_add_f64 v[0:1], v[0:1], v[16:17]
	v_fma_f64 v[32:33], v[12:13], -0.5, v[2:3]
	v_add_f64 v[2:3], v[2:3], v[18:19]
	v_add_f64 v[18:19], v[18:19], -v[26:27]
	v_add_f64 v[0:1], v[0:1], v[24:25]
	v_add_f64 v[24:25], v[16:17], -v[24:25]
	v_add_f64 v[2:3], v[2:3], v[26:27]
	v_fma_f64 v[12:13], v[18:19], s[0:1], v[14:15]
	v_fma_f64 v[16:17], v[18:19], s[2:3], v[14:15]
	;; [unrolled: 1-line block ×4, first 2 shown]
	v_add_f64 v[24:25], v[20:21], v[28:29]
	v_add_f64 v[26:27], v[22:23], v[30:31]
	s_waitcnt lgkmcnt(0)
	v_fma_f64 v[24:25], v[24:25], -0.5, v[8:9]
	v_add_f64 v[8:9], v[8:9], v[20:21]
	v_fma_f64 v[26:27], v[26:27], -0.5, v[10:11]
	v_add_f64 v[10:11], v[10:11], v[22:23]
	v_add_f64 v[22:23], v[22:23], -v[30:31]
	v_add_f64 v[8:9], v[8:9], v[28:29]
	v_add_f64 v[28:29], v[20:21], -v[28:29]
	v_add_f64 v[10:11], v[10:11], v[30:31]
	v_fma_f64 v[20:21], v[22:23], s[0:1], v[24:25]
	v_fma_f64 v[24:25], v[22:23], s[2:3], v[24:25]
	;; [unrolled: 1-line block ×4, first 2 shown]
	ds_read_b128 v[28:31], v76 offset:544
	ds_read_b128 v[32:35], v76 offset:816
	s_waitcnt lgkmcnt(1)
	v_fma_f64 v[46:47], v[46:47], -0.5, v[30:31]
	v_add_f64 v[30:31], v[30:31], v[38:39]
	v_fma_f64 v[44:45], v[44:45], -0.5, v[28:29]
	v_add_f64 v[28:29], v[28:29], v[36:37]
	v_add_f64 v[38:39], v[38:39], -v[42:43]
	v_add_f64 v[30:31], v[30:31], v[42:43]
	v_add_f64 v[42:43], v[36:37], -v[40:41]
	v_add_f64 v[28:29], v[28:29], v[40:41]
	v_fma_f64 v[36:37], v[38:39], s[0:1], v[44:45]
	v_fma_f64 v[40:41], v[38:39], s[2:3], v[44:45]
	;; [unrolled: 1-line block ×4, first 2 shown]
	ds_read_b128 v[44:47], v76 offset:1088
	ds_read_b128 v[48:51], v76 offset:1360
	s_waitcnt lgkmcnt(0)
	s_barrier
	buffer_gl0_inv
	ds_write_b128 v76, v[0:3]
	ds_write_b128 v76, v[12:15] offset:272
	ds_write_b128 v76, v[16:19] offset:544
	;; [unrolled: 1-line block ×5, first 2 shown]
	buffer_load_dword v0, off, s[60:63], 0 offset:656 ; 4-byte Folded Reload
	v_add_f64 v[8:9], v[32:33], v[52:53]
	v_add_f64 v[12:13], v[54:55], -v[58:59]
	v_add_f64 v[16:17], v[52:53], -v[56:57]
	s_waitcnt vmcnt(0)
	ds_write_b128 v0, v[28:31] offset:1632
	ds_write_b128 v0, v[36:39] offset:1904
	;; [unrolled: 1-line block ×3, first 2 shown]
	v_add_f64 v[0:1], v[52:53], v[56:57]
	v_fma_f64 v[10:11], v[0:1], -0.5, v[32:33]
	v_add_f64 v[0:1], v[54:55], v[58:59]
	v_fma_f64 v[14:15], v[0:1], -0.5, v[34:35]
	v_add_f64 v[0:1], v[34:35], v[54:55]
	v_add_f64 v[2:3], v[0:1], v[58:59]
	;; [unrolled: 1-line block ×3, first 2 shown]
	v_fma_f64 v[8:9], v[12:13], s[0:1], v[10:11]
	v_fma_f64 v[12:13], v[12:13], s[2:3], v[10:11]
	;; [unrolled: 1-line block ×4, first 2 shown]
	buffer_load_dword v16, off, s[60:63], 0 offset:648 ; 4-byte Folded Reload
	s_waitcnt vmcnt(0)
	ds_write_b128 v16, v[0:3] offset:2448
	ds_write_b128 v16, v[8:11] offset:2720
	;; [unrolled: 1-line block ×3, first 2 shown]
	v_add_f64 v[0:1], v[60:61], v[64:65]
	v_add_f64 v[8:9], v[44:45], v[60:61]
	v_add_f64 v[12:13], v[62:63], -v[66:67]
	v_add_f64 v[16:17], v[60:61], -v[64:65]
	v_fma_f64 v[10:11], v[0:1], -0.5, v[44:45]
	v_add_f64 v[0:1], v[62:63], v[66:67]
	v_fma_f64 v[14:15], v[0:1], -0.5, v[46:47]
	v_add_f64 v[0:1], v[46:47], v[62:63]
	v_add_f64 v[2:3], v[0:1], v[66:67]
	;; [unrolled: 1-line block ×3, first 2 shown]
	v_fma_f64 v[8:9], v[12:13], s[0:1], v[10:11]
	v_fma_f64 v[12:13], v[12:13], s[2:3], v[10:11]
	;; [unrolled: 1-line block ×4, first 2 shown]
	buffer_load_dword v16, off, s[60:63], 0 offset:640 ; 4-byte Folded Reload
	s_waitcnt vmcnt(0)
	ds_write_b128 v16, v[0:3] offset:3264
	ds_write_b128 v16, v[8:11] offset:3536
	;; [unrolled: 1-line block ×3, first 2 shown]
	v_add_f64 v[0:1], v[68:69], v[72:73]
	v_add_f64 v[8:9], v[48:49], v[68:69]
	v_add_f64 v[12:13], v[70:71], -v[74:75]
	v_add_f64 v[16:17], v[68:69], -v[72:73]
	v_fma_f64 v[10:11], v[0:1], -0.5, v[48:49]
	v_add_f64 v[0:1], v[70:71], v[74:75]
	v_fma_f64 v[14:15], v[0:1], -0.5, v[50:51]
	v_add_f64 v[0:1], v[50:51], v[70:71]
	v_add_f64 v[2:3], v[0:1], v[74:75]
	;; [unrolled: 1-line block ×3, first 2 shown]
	v_fma_f64 v[8:9], v[12:13], s[0:1], v[10:11]
	v_fma_f64 v[12:13], v[12:13], s[2:3], v[10:11]
	;; [unrolled: 1-line block ×4, first 2 shown]
	ds_write_b128 v155, v[0:3] offset:4080
	ds_write_b128 v155, v[8:11] offset:4352
	ds_write_b128 v155, v[12:15] offset:4624
	v_add_f64 v[0:1], v[77:78], v[81:82]
	v_add_f64 v[12:13], v[77:78], -v[81:82]
	v_fma_f64 v[8:9], v[0:1], -0.5, v[4:5]
	v_add_f64 v[0:1], v[79:80], v[83:84]
	v_add_f64 v[4:5], v[4:5], v[77:78]
	v_fma_f64 v[10:11], v[0:1], -0.5, v[6:7]
	v_add_f64 v[0:1], v[6:7], v[79:80]
	v_add_f64 v[6:7], v[79:80], -v[83:84]
	v_add_f64 v[2:3], v[0:1], v[83:84]
	v_add_f64 v[0:1], v[4:5], v[81:82]
	v_fma_f64 v[4:5], v[6:7], s[0:1], v[8:9]
	v_fma_f64 v[8:9], v[6:7], s[2:3], v[8:9]
	;; [unrolled: 1-line block ×4, first 2 shown]
	ds_write_b128 v154, v[0:3] offset:4896
	ds_write_b128 v154, v[4:7] offset:5168
	;; [unrolled: 1-line block ×3, first 2 shown]
	s_waitcnt lgkmcnt(0)
	s_barrier
	buffer_gl0_inv
	ds_read_b128 v[0:3], v76 offset:816
	ds_read_b128 v[4:7], v76 offset:544
	s_mov_b32 s0, 0x36b3c0b5
	s_mov_b32 s1, 0x3fac98ee
	;; [unrolled: 1-line block ×4, first 2 shown]
	s_waitcnt lgkmcnt(1)
	v_mul_f64 v[8:9], v[182:183], v[2:3]
	v_fma_f64 v[32:33], v[180:181], v[0:1], v[8:9]
	v_mul_f64 v[0:1], v[182:183], v[0:1]
	v_fma_f64 v[34:35], v[180:181], v[2:3], -v[0:1]
	ds_read_b128 v[0:3], v76 offset:1632
	ds_read_b128 v[8:11], v76 offset:1904
	s_waitcnt lgkmcnt(1)
	v_mul_f64 v[12:13], v[178:179], v[2:3]
	v_fma_f64 v[36:37], v[176:177], v[0:1], v[12:13]
	v_mul_f64 v[0:1], v[178:179], v[0:1]
	v_fma_f64 v[38:39], v[176:177], v[2:3], -v[0:1]
	ds_read_b128 v[0:3], v76 offset:4896
	ds_read_b128 v[12:15], v76 offset:5168
	;; [unrolled: 7-line block ×6, first 2 shown]
	s_waitcnt lgkmcnt(1)
	v_mul_f64 v[56:57], v[206:207], v[2:3]
	v_fma_f64 v[56:57], v[204:205], v[0:1], v[56:57]
	v_mul_f64 v[0:1], v[206:207], v[0:1]
	v_fma_f64 v[58:59], v[204:205], v[2:3], -v[0:1]
	v_mul_f64 v[0:1], v[202:203], v[10:11]
	v_fma_f64 v[60:61], v[200:201], v[8:9], v[0:1]
	v_mul_f64 v[0:1], v[202:203], v[8:9]
	v_fma_f64 v[62:63], v[200:201], v[10:11], -v[0:1]
	ds_read_b128 v[0:3], v76 offset:2720
	ds_read_b128 v[8:11], v76 offset:2992
	s_waitcnt lgkmcnt(1)
	v_mul_f64 v[64:65], v[198:199], v[2:3]
	v_fma_f64 v[64:65], v[196:197], v[0:1], v[64:65]
	v_mul_f64 v[0:1], v[198:199], v[0:1]
	v_fma_f64 v[66:67], v[196:197], v[2:3], -v[0:1]
	v_mul_f64 v[0:1], v[194:195], v[26:27]
	v_fma_f64 v[68:69], v[192:193], v[24:25], v[0:1]
	v_mul_f64 v[0:1], v[194:195], v[24:25]
	v_add_f64 v[113:114], v[64:65], v[68:69]
	v_fma_f64 v[70:71], v[192:193], v[26:27], -v[0:1]
	ds_read_b128 v[0:3], v76 offset:4352
	ds_read_b128 v[24:27], v76 offset:4624
	s_waitcnt lgkmcnt(1)
	v_mul_f64 v[72:73], v[214:215], v[2:3]
	v_add_f64 v[121:122], v[66:67], v[70:71]
	v_fma_f64 v[72:73], v[212:213], v[0:1], v[72:73]
	v_mul_f64 v[0:1], v[214:215], v[0:1]
	v_fma_f64 v[74:75], v[212:213], v[2:3], -v[0:1]
	v_mul_f64 v[0:1], v[210:211], v[14:15]
	v_add_f64 v[119:120], v[62:63], v[74:75]
	v_fma_f64 v[77:78], v[208:209], v[12:13], v[0:1]
	v_mul_f64 v[0:1], v[210:211], v[12:13]
	v_fma_f64 v[79:80], v[208:209], v[14:15], -v[0:1]
	v_mul_f64 v[0:1], v[230:231], v[30:31]
	v_add_f64 v[117:118], v[58:59], v[79:80]
	v_fma_f64 v[81:82], v[228:229], v[28:29], v[0:1]
	v_mul_f64 v[0:1], v[230:231], v[28:29]
	v_add_f64 v[28:29], v[38:39], -v[46:47]
	v_add_f64 v[123:124], v[119:120], v[117:118]
	v_fma_f64 v[83:84], v[228:229], v[30:31], -v[0:1]
	v_mul_f64 v[0:1], v[226:227], v[22:23]
	v_add_f64 v[30:31], v[54:55], -v[50:51]
	v_add_f64 v[123:124], v[121:122], v[123:124]
	v_fma_f64 v[85:86], v[224:225], v[20:21], v[0:1]
	v_mul_f64 v[0:1], v[226:227], v[20:21]
	v_add_f64 v[20:21], v[32:33], v[40:41]
	v_add_f64 v[32:33], v[32:33], -v[40:41]
	v_fma_f64 v[87:88], v[224:225], v[22:23], -v[0:1]
	s_waitcnt lgkmcnt(0)
	v_mul_f64 v[0:1], v[238:239], v[26:27]
	v_add_f64 v[22:23], v[48:49], v[52:53]
	v_fma_f64 v[89:90], v[236:237], v[24:25], v[0:1]
	v_mul_f64 v[0:1], v[238:239], v[24:25]
	v_add_f64 v[24:25], v[34:35], v[42:43]
	v_add_f64 v[34:35], v[34:35], -v[42:43]
	v_add_f64 v[127:128], v[85:86], v[89:90]
	v_fma_f64 v[91:92], v[236:237], v[26:27], -v[0:1]
	ds_read_b128 v[0:3], v76 offset:5440
	v_add_f64 v[26:27], v[50:51], v[54:55]
	s_waitcnt lgkmcnt(0)
	v_mul_f64 v[12:13], v[234:235], v[2:3]
	v_add_f64 v[135:136], v[87:88], v[91:92]
	v_fma_f64 v[93:94], v[232:233], v[0:1], v[12:13]
	v_mul_f64 v[0:1], v[234:235], v[0:1]
	v_add_f64 v[12:13], v[36:37], v[44:45]
	v_add_f64 v[36:37], v[36:37], -v[44:45]
	v_add_f64 v[44:45], v[30:31], v[28:29]
	v_add_f64 v[125:126], v[81:82], v[93:94]
	v_fma_f64 v[95:96], v[232:233], v[2:3], -v[0:1]
	v_mul_f64 v[0:1], v[222:223], v[10:11]
	v_add_f64 v[40:41], v[12:13], -v[20:21]
	v_add_f64 v[42:43], v[22:23], -v[12:13]
	v_add_f64 v[44:45], v[44:45], v[34:35]
	v_add_f64 v[131:132], v[127:128], v[125:126]
	;; [unrolled: 1-line block ×3, first 2 shown]
	v_fma_f64 v[97:98], v[220:221], v[8:9], v[0:1]
	v_mul_f64 v[0:1], v[222:223], v[8:9]
	v_add_f64 v[139:140], v[135:136], v[133:134]
	v_fma_f64 v[99:100], v[220:221], v[10:11], -v[0:1]
	v_mul_f64 v[0:1], v[218:219], v[18:19]
	v_fma_f64 v[101:102], v[216:217], v[16:17], v[0:1]
	v_mul_f64 v[0:1], v[218:219], v[16:17]
	v_add_f64 v[16:17], v[38:39], v[46:47]
	v_add_f64 v[38:39], v[52:53], -v[48:49]
	v_add_f64 v[129:130], v[97:98], v[101:102]
	v_fma_f64 v[103:104], v[216:217], v[18:19], -v[0:1]
	v_add_f64 v[0:1], v[12:13], v[20:21]
	v_add_f64 v[12:13], v[30:31], -v[28:29]
	v_add_f64 v[28:29], v[28:29], -v[34:35]
	;; [unrolled: 1-line block ×6, first 2 shown]
	v_add_f64 v[131:132], v[129:130], v[131:132]
	v_add_f64 v[137:138], v[99:100], v[103:104]
	;; [unrolled: 1-line block ×4, first 2 shown]
	v_mul_f64 v[50:51], v[12:13], s[12:13]
	v_mul_f64 v[12:13], v[42:43], s[0:1]
	v_add_f64 v[16:17], v[38:39], v[36:37]
	v_add_f64 v[22:23], v[24:25], -v[26:27]
	v_mul_f64 v[34:35], v[20:21], s[22:23]
	v_mul_f64 v[20:21], v[28:29], s[4:5]
	v_add_f64 v[4:5], v[4:5], v[131:132]
	v_add_f64 v[139:140], v[137:138], v[139:140]
	;; [unrolled: 1-line block ×3, first 2 shown]
	ds_read_b128 v[0:3], v76
	ds_read_b128 v[8:11], v76 offset:272
	v_fma_f64 v[12:13], v[40:41], s[18:19], -v[12:13]
	v_add_f64 v[105:106], v[16:17], v[32:33]
	v_fma_f64 v[24:25], v[40:41], s[24:25], -v[34:35]
	v_fma_f64 v[20:21], v[30:31], s[26:27], -v[20:21]
	v_fma_f64 v[30:31], v[30:31], s[20:21], v[50:51]
	s_waitcnt lgkmcnt(1)
	v_add_f64 v[0:1], v[0:1], v[14:15]
	s_waitcnt lgkmcnt(0)
	v_add_f64 v[10:11], v[10:11], v[123:124]
	v_add_f64 v[2:3], v[2:3], v[18:19]
	;; [unrolled: 1-line block ×3, first 2 shown]
	v_fma_f64 v[52:53], v[14:15], s[16:17], v[0:1]
	v_mul_f64 v[14:15], v[48:49], s[0:1]
	v_fma_f64 v[54:55], v[18:19], s[16:17], v[2:3]
	v_add_f64 v[18:19], v[38:39], -v[36:37]
	v_add_f64 v[36:37], v[36:37], -v[32:33]
	;; [unrolled: 1-line block ×3, first 2 shown]
	v_mul_f64 v[38:39], v[22:23], s[22:23]
	v_add_f64 v[16:17], v[12:13], v[52:53]
	v_fma_f64 v[12:13], v[28:29], s[4:5], -v[50:51]
	v_fma_f64 v[14:15], v[46:47], s[18:19], -v[14:15]
	v_mul_f64 v[107:108], v[18:19], s[12:13]
	v_mul_f64 v[22:23], v[36:37], s[4:5]
	v_add_f64 v[24:25], v[24:25], v[52:53]
	v_fma_f64 v[26:27], v[46:47], s[24:25], -v[38:39]
	v_fma_f64 v[28:29], v[44:45], s[2:3], v[20:21]
	v_add_f64 v[50:51], v[58:59], -v[79:80]
	v_add_f64 v[46:47], v[68:69], -v[64:65]
	;; [unrolled: 1-line block ×3, first 2 shown]
	v_fma_f64 v[109:110], v[44:45], s[2:3], v[12:13]
	v_add_f64 v[18:19], v[14:15], v[54:55]
	v_fma_f64 v[12:13], v[36:37], s[4:5], -v[107:108]
	v_fma_f64 v[22:23], v[32:33], s[26:27], -v[22:23]
	v_fma_f64 v[32:33], v[32:33], s[20:21], v[107:108]
	v_add_f64 v[26:27], v[26:27], v[54:55]
	v_add_f64 v[20:21], v[28:29], v[24:25]
	v_add_f64 v[24:25], v[24:25], -v[28:29]
	v_fma_f64 v[28:29], v[42:43], s[0:1], v[34:35]
	v_fma_f64 v[34:35], v[48:49], s[0:1], v[38:39]
	;; [unrolled: 1-line block ×3, first 2 shown]
	v_add_f64 v[44:45], v[70:71], -v[66:67]
	v_add_f64 v[48:49], v[56:57], -v[77:78]
	v_fma_f64 v[66:67], v[123:124], s[16:17], v[10:11]
	v_fma_f64 v[111:112], v[105:106], s[2:3], v[12:13]
	v_add_f64 v[12:13], v[16:17], -v[109:110]
	v_add_f64 v[16:17], v[109:110], v[16:17]
	v_add_f64 v[109:110], v[56:57], v[77:78]
	v_fma_f64 v[36:37], v[105:106], s[2:3], v[22:23]
	v_fma_f64 v[40:41], v[105:106], s[2:3], v[32:33]
	v_add_f64 v[56:57], v[119:120], -v[117:118]
	v_add_f64 v[34:35], v[34:35], v[54:55]
	v_add_f64 v[107:108], v[50:51], -v[44:45]
	v_add_f64 v[105:106], v[48:49], -v[46:47]
	v_add_f64 v[14:15], v[111:112], v[18:19]
	v_add_f64 v[18:19], v[18:19], -v[111:112]
	v_add_f64 v[111:112], v[60:61], v[72:73]
	;; [unrolled: 2-line block ×3, first 2 shown]
	v_add_f64 v[36:37], v[28:29], v[52:53]
	v_add_f64 v[30:31], v[34:35], -v[40:41]
	v_add_f64 v[34:35], v[40:41], v[34:35]
	v_add_f64 v[115:116], v[111:112], v[109:110]
	v_add_f64 v[54:55], v[113:114], -v[111:112]
	v_add_f64 v[52:53], v[111:112], -v[109:110]
	v_add_f64 v[28:29], v[38:39], v[36:37]
	v_add_f64 v[32:33], v[36:37], -v[38:39]
	v_add_f64 v[36:37], v[62:63], -v[74:75]
	v_add_f64 v[38:39], v[60:61], -v[72:73]
	v_add_f64 v[115:116], v[113:114], v[115:116]
	v_add_f64 v[40:41], v[44:45], -v[36:37]
	v_add_f64 v[42:43], v[44:45], v[36:37]
	v_add_f64 v[60:61], v[36:37], -v[50:51]
	v_mul_f64 v[36:37], v[54:55], s[0:1]
	v_add_f64 v[70:71], v[46:47], -v[38:39]
	v_add_f64 v[68:69], v[46:47], v[38:39]
	v_add_f64 v[72:73], v[38:39], -v[48:49]
	v_add_f64 v[8:9], v[8:9], v[115:116]
	ds_write_b128 v76, v[0:3]
	ds_write_b128 v76, v[28:31] offset:816
	ds_write_b128 v76, v[20:23] offset:1632
	;; [unrolled: 1-line block ×7, first 2 shown]
	buffer_load_dword v0, off, s[60:63], 0 offset:668 ; 4-byte Folded Reload
	v_mul_f64 v[62:63], v[40:41], s[12:13]
	v_fma_f64 v[36:37], v[52:53], s[18:19], -v[36:37]
	v_mul_f64 v[40:41], v[58:59], s[0:1]
	v_add_f64 v[74:75], v[42:43], v[50:51]
	v_mul_f64 v[70:71], v[70:71], s[12:13]
	v_fma_f64 v[64:65], v[115:116], s[16:17], v[8:9]
	v_add_f64 v[68:69], v[68:69], v[48:49]
	v_mul_f64 v[44:45], v[60:61], s[4:5]
	v_mul_f64 v[46:47], v[72:73], s[4:5]
	v_fma_f64 v[40:41], v[56:57], s[18:19], -v[40:41]
	v_add_f64 v[42:43], v[36:37], v[64:65]
	v_fma_f64 v[36:37], v[60:61], s[4:5], -v[62:63]
	v_fma_f64 v[44:45], v[107:108], s[26:27], -v[44:45]
	;; [unrolled: 1-line block ×3, first 2 shown]
	v_add_f64 v[77:78], v[40:41], v[66:67]
	v_fma_f64 v[40:41], v[74:75], s[2:3], v[36:37]
	v_fma_f64 v[36:37], v[72:73], s[4:5], -v[70:71]
	v_add_f64 v[72:73], v[83:84], -v[95:96]
	v_add_f64 v[83:84], v[135:136], -v[133:134]
	v_fma_f64 v[79:80], v[68:69], s[2:3], v[36:37]
	v_add_f64 v[36:37], v[42:43], -v[40:41]
	v_add_f64 v[40:41], v[40:41], v[42:43]
	v_add_f64 v[38:39], v[79:80], v[77:78]
	v_add_f64 v[42:43], v[77:78], -v[79:80]
	v_add_f64 v[77:78], v[109:110], -v[113:114]
	v_add_f64 v[79:80], v[117:118], -v[121:122]
	v_mul_f64 v[77:78], v[77:78], s[22:23]
	v_mul_f64 v[79:80], v[79:80], s[22:23]
	v_fma_f64 v[48:49], v[52:53], s[24:25], -v[77:78]
	v_fma_f64 v[50:51], v[56:57], s[24:25], -v[79:80]
	v_fma_f64 v[52:53], v[74:75], s[2:3], v[44:45]
	v_fma_f64 v[56:57], v[68:69], s[2:3], v[46:47]
	v_add_f64 v[48:49], v[48:49], v[64:65]
	v_add_f64 v[50:51], v[50:51], v[66:67]
	;; [unrolled: 1-line block ×3, first 2 shown]
	v_add_f64 v[46:47], v[50:51], -v[56:57]
	v_add_f64 v[48:49], v[48:49], -v[52:53]
	v_add_f64 v[50:51], v[56:57], v[50:51]
	v_fma_f64 v[52:53], v[54:55], s[0:1], v[77:78]
	v_fma_f64 v[54:55], v[58:59], s[0:1], v[79:80]
	;; [unrolled: 1-line block ×4, first 2 shown]
	v_add_f64 v[70:71], v[101:102], -v[97:98]
	v_add_f64 v[77:78], v[129:130], -v[127:128]
	;; [unrolled: 1-line block ×3, first 2 shown]
	v_add_f64 v[60:61], v[52:53], v[64:65]
	v_add_f64 v[62:63], v[54:55], v[66:67]
	v_fma_f64 v[56:57], v[74:75], s[2:3], v[56:57]
	v_fma_f64 v[58:59], v[68:69], s[2:3], v[58:59]
	v_add_f64 v[68:69], v[103:104], -v[99:100]
	v_add_f64 v[74:75], v[81:82], -v[93:94]
	v_add_f64 v[81:82], v[137:138], -v[135:136]
	v_add_f64 v[52:53], v[56:57], v[60:61]
	v_add_f64 v[54:55], v[62:63], -v[58:59]
	v_add_f64 v[56:57], v[60:61], -v[56:57]
	v_add_f64 v[58:59], v[58:59], v[62:63]
	s_waitcnt vmcnt(0)
	ds_write_b128 v0, v[52:55] offset:816
	ds_write_b128 v0, v[44:47] offset:1632
	;; [unrolled: 1-line block ×7, first 2 shown]
	buffer_load_dword v0, off, s[60:63], 0 offset:664 ; 4-byte Folded Reload
	v_add_f64 v[60:61], v[87:88], -v[91:92]
	v_add_f64 v[62:63], v[85:86], -v[89:90]
	v_mul_f64 v[66:67], v[81:82], s[0:1]
	v_fma_f64 v[89:90], v[131:132], s[16:17], v[4:5]
	v_fma_f64 v[91:92], v[139:140], s[16:17], v[6:7]
	v_add_f64 v[105:106], v[74:75], -v[70:71]
	v_add_f64 v[107:108], v[72:73], -v[68:69]
	;; [unrolled: 1-line block ×4, first 2 shown]
	v_add_f64 v[60:61], v[68:69], v[60:61]
	v_add_f64 v[93:94], v[70:71], -v[62:63]
	v_add_f64 v[95:96], v[70:71], v[62:63]
	v_add_f64 v[97:98], v[62:63], -v[74:75]
	v_fma_f64 v[66:67], v[83:84], s[18:19], -v[66:67]
	v_mul_f64 v[87:88], v[64:65], s[12:13]
	v_mul_f64 v[64:65], v[77:78], s[0:1]
	v_add_f64 v[99:100], v[60:61], v[72:73]
	v_mul_f64 v[93:94], v[93:94], s[12:13]
	v_add_f64 v[95:96], v[95:96], v[74:75]
	;; [unrolled: 2-line block ×3, first 2 shown]
	v_mul_f64 v[70:71], v[97:98], s[4:5]
	v_fma_f64 v[60:61], v[85:86], s[4:5], -v[87:88]
	v_fma_f64 v[64:65], v[79:80], s[18:19], -v[64:65]
	;; [unrolled: 1-line block ×4, first 2 shown]
	v_fma_f64 v[101:102], v[99:100], s[2:3], v[60:61]
	v_fma_f64 v[60:61], v[97:98], s[4:5], -v[93:94]
	v_add_f64 v[64:65], v[64:65], v[89:90]
	v_fma_f64 v[103:104], v[95:96], s[2:3], v[60:61]
	v_add_f64 v[60:61], v[64:65], -v[101:102]
	v_add_f64 v[64:65], v[101:102], v[64:65]
	v_add_f64 v[101:102], v[125:126], -v[129:130]
	v_add_f64 v[62:63], v[103:104], v[66:67]
	v_add_f64 v[66:67], v[66:67], -v[103:104]
	v_add_f64 v[103:104], v[133:134], -v[137:138]
	v_mul_f64 v[101:102], v[101:102], s[22:23]
	v_mul_f64 v[103:104], v[103:104], s[22:23]
	v_fma_f64 v[72:73], v[79:80], s[24:25], -v[101:102]
	v_fma_f64 v[79:80], v[99:100], s[2:3], v[68:69]
	v_fma_f64 v[77:78], v[77:78], s[0:1], v[101:102]
	v_fma_f64 v[74:75], v[83:84], s[24:25], -v[103:104]
	v_add_f64 v[72:73], v[72:73], v[89:90]
	v_fma_f64 v[83:84], v[95:96], s[2:3], v[70:71]
	v_add_f64 v[85:86], v[77:78], v[89:90]
	v_add_f64 v[74:75], v[74:75], v[91:92]
	;; [unrolled: 1-line block ×3, first 2 shown]
	v_add_f64 v[72:73], v[72:73], -v[79:80]
	v_fma_f64 v[79:80], v[81:82], s[0:1], v[103:104]
	v_fma_f64 v[81:82], v[107:108], s[20:21], v[87:88]
	s_mul_hi_u32 s1, s8, 21
	v_add_f64 v[70:71], v[74:75], -v[83:84]
	v_add_f64 v[74:75], v[83:84], v[74:75]
	v_fma_f64 v[83:84], v[105:106], s[20:21], v[93:94]
	v_add_f64 v[87:88], v[79:80], v[91:92]
	v_fma_f64 v[81:82], v[99:100], s[2:3], v[81:82]
	v_fma_f64 v[83:84], v[95:96], s[2:3], v[83:84]
	s_mov_b32 s2, 0x16f26017
	v_add_f64 v[77:78], v[81:82], v[85:86]
	v_add_f64 v[81:82], v[85:86], -v[81:82]
	s_mov_b32 s3, 0x3f66f260
	v_add_f64 v[79:80], v[87:88], -v[83:84]
	v_add_f64 v[83:84], v[83:84], v[87:88]
	s_waitcnt vmcnt(0)
	ds_write_b128 v0, v[77:80] offset:816
	ds_write_b128 v0, v[68:71] offset:1632
	;; [unrolled: 1-line block ×6, first 2 shown]
	s_waitcnt lgkmcnt(0)
	s_barrier
	buffer_gl0_inv
	ds_read_b128 v[0:3], v76
	ds_read_b128 v[4:7], v76 offset:336
	s_clause 0x6
	buffer_load_dword v21, off, s[60:63], 0 offset:424
	buffer_load_dword v22, off, s[60:63], 0 offset:428
	;; [unrolled: 1-line block ×6, first 2 shown]
	buffer_load_dword v20, off, s[60:63], 0
	s_waitcnt vmcnt(3) lgkmcnt(1)
	v_mul_f64 v[12:13], v[23:24], v[2:3]
	s_waitcnt vmcnt(2)
	v_mov_b32_e32 v17, v8
	s_waitcnt vmcnt(1)
	ds_read_b128 v[8:11], v76 offset:672
	s_clause 0x3
	buffer_load_dword v40, off, s[60:63], 0 offset:236
	buffer_load_dword v41, off, s[60:63], 0 offset:240
	;; [unrolled: 1-line block ×4, first 2 shown]
	v_mul_f64 v[14:15], v[23:24], v[0:1]
	s_waitcnt vmcnt(4)
	v_mad_u64_u32 v[32:33], null, s8, v20, 0
	v_mad_u64_u32 v[18:19], null, s10, v17, 0
	v_mov_b32_e32 v16, v19
	v_mad_u64_u32 v[16:17], null, s11, v17, v[16:17]
	v_fma_f64 v[0:1], v[21:22], v[0:1], v[12:13]
	v_mov_b32_e32 v17, v33
	v_fma_f64 v[2:3], v[21:22], v[2:3], -v[14:15]
	ds_read_b128 v[12:15], v76 offset:1008
	v_mad_u64_u32 v[26:27], null, s9, v20, v[17:18]
	v_mov_b32_e32 v19, v16
	v_mov_b32_e32 v33, v26
	v_mul_f64 v[16:17], v[0:1], s[2:3]
	v_lshlrev_b64 v[0:1], 4, v[18:19]
	v_mul_f64 v[18:19], v[2:3], s[2:3]
	v_add_co_u32 v2, s0, s14, v0
	v_add_co_ci_u32_e64 v3, s0, s15, v1, s0
	s_waitcnt vmcnt(0) lgkmcnt(2)
	v_mul_f64 v[24:25], v[42:43], v[6:7]
	v_mul_f64 v[34:35], v[42:43], v[4:5]
	s_clause 0x3
	buffer_load_dword v42, off, s[60:63], 0 offset:292
	buffer_load_dword v43, off, s[60:63], 0 offset:296
	;; [unrolled: 1-line block ×4, first 2 shown]
	ds_read_b128 v[20:23], v76 offset:1344
	ds_read_b128 v[28:31], v76 offset:2016
	v_fma_f64 v[4:5], v[40:41], v[4:5], v[24:25]
	ds_read_b128 v[24:27], v76 offset:1680
	s_clause 0x3
	buffer_load_dword v54, off, s[60:63], 0 offset:260
	buffer_load_dword v55, off, s[60:63], 0 offset:264
	;; [unrolled: 1-line block ×4, first 2 shown]
	v_fma_f64 v[0:1], v[40:41], v[6:7], -v[34:35]
	v_lshlrev_b64 v[6:7], 4, v[32:33]
	v_add_co_u32 v40, s0, v2, v6
	v_add_co_ci_u32_e64 v41, s0, v3, v7, s0
	s_mul_i32 s0, s9, 21
	s_add_i32 s1, s1, s0
	s_mul_i32 s0, s8, 21
	s_lshl_b64 s[4:5], s[0:1], 4
	v_mul_f64 v[4:5], v[4:5], s[2:3]
	v_mul_f64 v[6:7], v[0:1], s[2:3]
	s_waitcnt vmcnt(4) lgkmcnt(4)
	v_mul_f64 v[36:37], v[44:45], v[10:11]
	v_mul_f64 v[38:39], v[44:45], v[8:9]
	v_fma_f64 v[32:33], v[42:43], v[8:9], v[36:37]
	v_fma_f64 v[34:35], v[42:43], v[10:11], -v[38:39]
	s_waitcnt vmcnt(0) lgkmcnt(3)
	v_mul_f64 v[36:37], v[56:57], v[14:15]
	v_mul_f64 v[38:39], v[56:57], v[12:13]
	s_clause 0x3
	buffer_load_dword v56, off, s[60:63], 0 offset:276
	buffer_load_dword v57, off, s[60:63], 0 offset:280
	;; [unrolled: 1-line block ×4, first 2 shown]
	v_mul_f64 v[32:33], v[32:33], s[2:3]
	v_mul_f64 v[34:35], v[34:35], s[2:3]
	v_fma_f64 v[0:1], v[54:55], v[12:13], v[36:37]
	v_fma_f64 v[36:37], v[54:55], v[14:15], -v[38:39]
	v_add_co_u32 v38, s0, v40, s4
	v_add_co_ci_u32_e64 v39, s0, s5, v41, s0
	s_waitcnt vmcnt(0) lgkmcnt(2)
	v_mul_f64 v[42:43], v[58:59], v[22:23]
	v_mul_f64 v[44:45], v[58:59], v[20:21]
	s_clause 0x3
	buffer_load_dword v58, off, s[60:63], 0 offset:356
	buffer_load_dword v59, off, s[60:63], 0 offset:360
	;; [unrolled: 1-line block ×4, first 2 shown]
	ds_read_b128 v[8:11], v76 offset:2352
	v_fma_f64 v[20:21], v[56:57], v[20:21], v[42:43]
	v_add_co_u32 v42, s0, v38, s4
	v_add_co_ci_u32_e64 v43, s0, s5, v39, s0
	v_fma_f64 v[22:23], v[56:57], v[22:23], -v[44:45]
	v_mul_f64 v[20:21], v[20:21], s[2:3]
	v_mul_f64 v[22:23], v[22:23], s[2:3]
	s_waitcnt vmcnt(0) lgkmcnt(1)
	v_mul_f64 v[46:47], v[60:61], v[26:27]
	v_mul_f64 v[48:49], v[60:61], v[24:25]
	s_clause 0x3
	buffer_load_dword v60, off, s[60:63], 0 offset:440
	buffer_load_dword v61, off, s[60:63], 0 offset:444
	;; [unrolled: 1-line block ×4, first 2 shown]
	ds_read_b128 v[12:15], v76 offset:2688
	v_fma_f64 v[24:25], v[58:59], v[24:25], v[46:47]
	v_fma_f64 v[26:27], v[58:59], v[26:27], -v[48:49]
	v_mul_f64 v[24:25], v[24:25], s[2:3]
	v_mul_f64 v[26:27], v[26:27], s[2:3]
	s_waitcnt vmcnt(0)
	v_mul_f64 v[52:53], v[62:63], v[28:29]
	v_mul_f64 v[50:51], v[62:63], v[30:31]
	v_fma_f64 v[30:31], v[60:61], v[30:31], -v[52:53]
	s_clause 0x3
	buffer_load_dword v52, off, s[60:63], 0 offset:504
	buffer_load_dword v53, off, s[60:63], 0 offset:508
	;; [unrolled: 1-line block ×4, first 2 shown]
	global_store_dwordx4 v[40:41], v[16:19], off
	global_store_dwordx4 v[38:39], v[4:7], off
	;; [unrolled: 1-line block ×3, first 2 shown]
	v_fma_f64 v[28:29], v[60:61], v[28:29], v[50:51]
	ds_read_b128 v[16:19], v76 offset:3024
	s_clause 0x3
	buffer_load_dword v48, off, s[60:63], 0 offset:488
	buffer_load_dword v49, off, s[60:63], 0 offset:492
	;; [unrolled: 1-line block ×4, first 2 shown]
	v_mul_f64 v[6:7], v[36:37], s[2:3]
	v_mul_f64 v[4:5], v[0:1], s[2:3]
	v_add_co_u32 v32, s0, v42, s4
	v_add_co_ci_u32_e64 v33, s0, s5, v43, s0
	v_add_co_u32 v40, s0, v32, s4
	v_add_co_ci_u32_e64 v41, s0, s5, v33, s0
	;; [unrolled: 2-line block ×3, first 2 shown]
	v_mul_f64 v[30:31], v[30:31], s[2:3]
	v_mul_f64 v[28:29], v[28:29], s[2:3]
	s_waitcnt vmcnt(4) lgkmcnt(2)
	v_mul_f64 v[44:45], v[54:55], v[10:11]
	v_mul_f64 v[46:47], v[54:55], v[8:9]
	s_waitcnt vmcnt(0) lgkmcnt(1)
	v_mul_f64 v[0:1], v[50:51], v[14:15]
	v_mul_f64 v[34:35], v[50:51], v[12:13]
	v_fma_f64 v[36:37], v[52:53], v[8:9], v[44:45]
	v_fma_f64 v[38:39], v[52:53], v[10:11], -v[46:47]
	ds_read_b128 v[8:11], v76 offset:3360
	s_clause 0x3
	buffer_load_dword v56, off, s[60:63], 0 offset:404
	buffer_load_dword v57, off, s[60:63], 0 offset:408
	;; [unrolled: 1-line block ×4, first 2 shown]
	v_add_co_u32 v44, s0, v42, s4
	v_add_co_ci_u32_e64 v45, s0, s5, v43, s0
	global_store_dwordx4 v[32:33], v[4:7], off
	global_store_dwordx4 v[40:41], v[20:23], off
	ds_read_b128 v[4:7], v76 offset:3696
	global_store_dwordx4 v[42:43], v[24:27], off
	global_store_dwordx4 v[44:45], v[28:31], off
	v_fma_f64 v[0:1], v[48:49], v[12:13], v[0:1]
	v_fma_f64 v[46:47], v[48:49], v[14:15], -v[34:35]
	v_add_co_u32 v44, s0, v44, s4
	v_add_co_ci_u32_e64 v45, s0, s5, v45, s0
	v_mul_f64 v[12:13], v[36:37], s[2:3]
	v_mul_f64 v[14:15], v[38:39], s[2:3]
	;; [unrolled: 1-line block ×4, first 2 shown]
	s_waitcnt vmcnt(0) lgkmcnt(2)
	v_mul_f64 v[48:49], v[58:59], v[18:19]
	v_mul_f64 v[50:51], v[58:59], v[16:17]
	s_clause 0x3
	buffer_load_dword v58, off, s[60:63], 0 offset:372
	buffer_load_dword v59, off, s[60:63], 0 offset:376
	;; [unrolled: 1-line block ×4, first 2 shown]
	ds_read_b128 v[20:23], v76 offset:4032
	ds_read_b128 v[24:27], v76 offset:4368
	;; [unrolled: 1-line block ×5, first 2 shown]
	s_clause 0x7
	buffer_load_dword v83, off, s[60:63], 0 offset:340
	buffer_load_dword v84, off, s[60:63], 0 offset:344
	;; [unrolled: 1-line block ×8, first 2 shown]
	v_fma_f64 v[0:1], v[56:57], v[16:17], v[48:49]
	v_fma_f64 v[16:17], v[56:57], v[18:19], -v[50:51]
	v_add_co_u32 v48, s0, v44, s4
	v_add_co_ci_u32_e64 v49, s0, s5, v45, s0
	s_waitcnt vmcnt(8) lgkmcnt(6)
	v_mul_f64 v[52:53], v[60:61], v[10:11]
	v_mul_f64 v[54:55], v[60:61], v[8:9]
	s_waitcnt vmcnt(4) lgkmcnt(5)
	v_mul_f64 v[18:19], v[85:86], v[6:7]
	v_mul_f64 v[46:47], v[85:86], v[4:5]
	;; [unrolled: 3-line block ×3, first 2 shown]
	s_clause 0x7
	buffer_load_dword v79, off, s[60:63], 0 offset:324
	buffer_load_dword v80, off, s[60:63], 0 offset:328
	;; [unrolled: 1-line block ×8, first 2 shown]
	v_fma_f64 v[52:53], v[58:59], v[8:9], v[52:53]
	v_fma_f64 v[54:55], v[58:59], v[10:11], -v[54:55]
	v_mul_f64 v[8:9], v[0:1], s[2:3]
	v_mul_f64 v[10:11], v[16:17], s[2:3]
	v_fma_f64 v[0:1], v[83:84], v[4:5], v[18:19]
	v_fma_f64 v[16:17], v[77:78], v[20:21], v[50:51]
	v_fma_f64 v[18:19], v[77:78], v[22:23], -v[56:57]
	v_mul_f64 v[4:5], v[52:53], s[2:3]
	v_mul_f64 v[16:17], v[16:17], s[2:3]
	;; [unrolled: 1-line block ×3, first 2 shown]
	s_waitcnt vmcnt(4) lgkmcnt(3)
	v_mul_f64 v[58:59], v[81:82], v[26:27]
	s_waitcnt vmcnt(0) lgkmcnt(2)
	v_mul_f64 v[62:63], v[87:88], v[30:31]
	v_mul_f64 v[64:65], v[87:88], v[28:29]
	s_clause 0x3
	buffer_load_dword v87, off, s[60:63], 0 offset:456
	buffer_load_dword v88, off, s[60:63], 0 offset:460
	;; [unrolled: 1-line block ×4, first 2 shown]
	v_mul_f64 v[60:61], v[81:82], v[24:25]
	v_fma_f64 v[20:21], v[79:80], v[24:25], v[58:59]
	v_fma_f64 v[24:25], v[85:86], v[28:29], v[62:63]
	v_fma_f64 v[22:23], v[79:80], v[26:27], -v[60:61]
	v_fma_f64 v[26:27], v[85:86], v[30:31], -v[64:65]
	v_mul_f64 v[20:21], v[20:21], s[2:3]
	v_mul_f64 v[24:25], v[24:25], s[2:3]
	v_mul_f64 v[22:23], v[22:23], s[2:3]
	v_mul_f64 v[26:27], v[26:27], s[2:3]
	s_waitcnt vmcnt(0) lgkmcnt(1)
	v_mul_f64 v[66:67], v[89:90], v[34:35]
	v_mul_f64 v[68:69], v[89:90], v[32:33]
	s_clause 0x3
	buffer_load_dword v89, off, s[60:63], 0 offset:472
	buffer_load_dword v90, off, s[60:63], 0 offset:476
	;; [unrolled: 1-line block ×4, first 2 shown]
	global_store_dwordx4 v[44:45], v[12:15], off
	global_store_dwordx4 v[48:49], v[36:39], off
	v_fma_f64 v[14:15], v[83:84], v[6:7], -v[46:47]
	v_add_co_u32 v36, s0, v48, s4
	v_add_co_ci_u32_e64 v37, s0, s5, v49, s0
	v_mul_f64 v[6:7], v[54:55], s[2:3]
	v_add_co_u32 v38, s0, v36, s4
	v_add_co_ci_u32_e64 v39, s0, s5, v37, s0
	v_mul_f64 v[12:13], v[0:1], s[2:3]
	v_add_co_u32 v0, s0, v38, s4
	v_add_co_ci_u32_e64 v1, s0, s5, v39, s0
	global_store_dwordx4 v[36:37], v[8:11], off
	v_fma_f64 v[28:29], v[87:88], v[32:33], v[66:67]
	v_fma_f64 v[30:31], v[87:88], v[34:35], -v[68:69]
	v_mul_f64 v[14:15], v[14:15], s[2:3]
	global_store_dwordx4 v[38:39], v[4:7], off
	v_mul_f64 v[28:29], v[28:29], s[2:3]
	v_mul_f64 v[30:31], v[30:31], s[2:3]
	global_store_dwordx4 v[0:1], v[12:15], off
	s_waitcnt vmcnt(0) lgkmcnt(0)
	v_mul_f64 v[70:71], v[91:92], v[42:43]
	v_mul_f64 v[72:73], v[91:92], v[40:41]
	v_fma_f64 v[32:33], v[89:90], v[40:41], v[70:71]
	v_fma_f64 v[34:35], v[89:90], v[42:43], -v[72:73]
	v_add_co_u32 v40, s0, v0, s4
	v_add_co_ci_u32_e64 v41, s0, s5, v1, s0
	v_add_co_u32 v42, s0, v40, s4
	v_add_co_ci_u32_e64 v43, s0, s5, v41, s0
	;; [unrolled: 2-line block ×4, first 2 shown]
	v_mul_f64 v[32:33], v[32:33], s[2:3]
	v_mul_f64 v[34:35], v[34:35], s[2:3]
	v_add_co_u32 v0, s0, v4, s4
	v_add_co_ci_u32_e64 v1, s0, s5, v5, s0
	global_store_dwordx4 v[40:41], v[16:19], off
	global_store_dwordx4 v[42:43], v[20:23], off
	;; [unrolled: 1-line block ×5, first 2 shown]
	s_and_b32 exec_lo, exec_lo, vcc_lo
	s_cbranch_execz .LBB0_15
; %bb.14:
	s_clause 0x1
	buffer_load_dword v18, off, s[60:63], 0 offset:220
	buffer_load_dword v19, off, s[60:63], 0 offset:224
	v_mad_u64_u32 v[0:1], null, 0xffffec10, s8, v[0:1]
	s_mul_i32 s0, s9, 0xffffec10
	s_mul_hi_u32 s10, s8, 0x2a0
	s_sub_i32 s0, s0, s8
	s_mul_i32 s1, s8, 0x2a0
	v_add_nc_u32_e32 v1, s0, v1
	s_mul_i32 s0, s9, 0x2a0
	s_add_i32 s0, s10, s0
	s_waitcnt vmcnt(0)
	global_load_dwordx4 v[4:7], v[18:19], off offset:272
	ds_read_b128 v[8:11], v76 offset:272
	ds_read_b128 v[12:15], v76 offset:608
	s_waitcnt vmcnt(0) lgkmcnt(1)
	v_mul_f64 v[16:17], v[10:11], v[6:7]
	v_mul_f64 v[6:7], v[8:9], v[6:7]
	v_fma_f64 v[8:9], v[8:9], v[4:5], v[16:17]
	v_fma_f64 v[6:7], v[4:5], v[10:11], -v[6:7]
	v_mul_f64 v[4:5], v[8:9], s[2:3]
	v_mul_f64 v[6:7], v[6:7], s[2:3]
	global_store_dwordx4 v[0:1], v[4:7], off
	global_load_dwordx4 v[4:7], v[18:19], off offset:608
	v_add_co_u32 v0, vcc_lo, v0, s4
	v_add_co_ci_u32_e32 v1, vcc_lo, s5, v1, vcc_lo
	s_waitcnt vmcnt(0) lgkmcnt(0)
	v_mul_f64 v[8:9], v[14:15], v[6:7]
	v_mul_f64 v[6:7], v[12:13], v[6:7]
	v_fma_f64 v[8:9], v[12:13], v[4:5], v[8:9]
	v_fma_f64 v[6:7], v[4:5], v[14:15], -v[6:7]
	v_mul_f64 v[4:5], v[8:9], s[2:3]
	v_mul_f64 v[6:7], v[6:7], s[2:3]
	global_store_dwordx4 v[0:1], v[4:7], off
	global_load_dwordx4 v[4:7], v[18:19], off offset:944
	ds_read_b128 v[8:11], v76 offset:944
	ds_read_b128 v[12:15], v76 offset:1280
	v_add_co_u32 v0, vcc_lo, v0, s4
	v_add_co_ci_u32_e32 v1, vcc_lo, s5, v1, vcc_lo
	s_waitcnt vmcnt(0) lgkmcnt(1)
	v_mul_f64 v[16:17], v[10:11], v[6:7]
	v_mul_f64 v[6:7], v[8:9], v[6:7]
	v_fma_f64 v[8:9], v[8:9], v[4:5], v[16:17]
	v_fma_f64 v[6:7], v[4:5], v[10:11], -v[6:7]
	v_mul_f64 v[4:5], v[8:9], s[2:3]
	v_mul_f64 v[6:7], v[6:7], s[2:3]
	global_store_dwordx4 v[0:1], v[4:7], off
	global_load_dwordx4 v[4:7], v[18:19], off offset:1280
	s_waitcnt vmcnt(0) lgkmcnt(0)
	v_mul_f64 v[8:9], v[14:15], v[6:7]
	v_mul_f64 v[6:7], v[12:13], v[6:7]
	v_fma_f64 v[8:9], v[12:13], v[4:5], v[8:9]
	v_fma_f64 v[6:7], v[4:5], v[14:15], -v[6:7]
	buffer_load_dword v5, off, s[60:63], 0 offset:420 ; 4-byte Folded Reload
	v_mul_f64 v[6:7], v[6:7], s[2:3]
	s_waitcnt vmcnt(0)
	v_mad_u64_u32 v[10:11], null, s8, v5, 0
	v_mov_b32_e32 v4, v11
	v_mad_u64_u32 v[11:12], null, s9, v5, v[4:5]
	v_mul_f64 v[4:5], v[8:9], s[2:3]
	v_lshlrev_b64 v[8:9], 4, v[10:11]
	v_add_co_u32 v8, vcc_lo, v2, v8
	v_add_co_ci_u32_e32 v9, vcc_lo, v3, v9, vcc_lo
	v_add_co_u32 v0, vcc_lo, v0, s1
	v_add_co_ci_u32_e32 v1, vcc_lo, s0, v1, vcc_lo
	global_store_dwordx4 v[8:9], v[4:7], off
	global_load_dwordx4 v[4:7], v[18:19], off offset:1616
	ds_read_b128 v[8:11], v76 offset:1616
	ds_read_b128 v[12:15], v76 offset:1952
	s_waitcnt vmcnt(0) lgkmcnt(1)
	v_mul_f64 v[16:17], v[10:11], v[6:7]
	v_mul_f64 v[6:7], v[8:9], v[6:7]
	v_fma_f64 v[8:9], v[8:9], v[4:5], v[16:17]
	v_fma_f64 v[6:7], v[4:5], v[10:11], -v[6:7]
	v_mul_f64 v[4:5], v[8:9], s[2:3]
	v_mul_f64 v[6:7], v[6:7], s[2:3]
	global_store_dwordx4 v[0:1], v[4:7], off
	global_load_dwordx4 v[4:7], v[18:19], off offset:1952
	v_add_co_u32 v0, vcc_lo, v0, s4
	v_add_co_ci_u32_e32 v1, vcc_lo, s5, v1, vcc_lo
	s_waitcnt vmcnt(0) lgkmcnt(0)
	v_mul_f64 v[8:9], v[14:15], v[6:7]
	v_mul_f64 v[6:7], v[12:13], v[6:7]
	v_fma_f64 v[8:9], v[12:13], v[4:5], v[8:9]
	v_fma_f64 v[6:7], v[4:5], v[14:15], -v[6:7]
	v_mul_f64 v[4:5], v[8:9], s[2:3]
	v_mul_f64 v[6:7], v[6:7], s[2:3]
	global_store_dwordx4 v[0:1], v[4:7], off
	s_clause 0x1
	buffer_load_dword v18, off, s[60:63], 0 offset:228
	buffer_load_dword v19, off, s[60:63], 0 offset:232
	v_add_co_u32 v0, vcc_lo, v0, s4
	v_add_co_ci_u32_e32 v1, vcc_lo, s5, v1, vcc_lo
	s_waitcnt vmcnt(0)
	global_load_dwordx4 v[4:7], v[18:19], off offset:240
	ds_read_b128 v[8:11], v76 offset:2288
	ds_read_b128 v[12:15], v76 offset:2624
	s_waitcnt vmcnt(0) lgkmcnt(1)
	v_mul_f64 v[16:17], v[10:11], v[6:7]
	v_mul_f64 v[6:7], v[8:9], v[6:7]
	v_fma_f64 v[8:9], v[8:9], v[4:5], v[16:17]
	buffer_load_dword v16, off, s[60:63], 0 offset:700 ; 4-byte Folded Reload
	v_fma_f64 v[6:7], v[4:5], v[10:11], -v[6:7]
	v_mul_f64 v[4:5], v[8:9], s[2:3]
	v_mul_f64 v[6:7], v[6:7], s[2:3]
	global_store_dwordx4 v[0:1], v[4:7], off
	s_waitcnt vmcnt(0)
	v_lshlrev_b32_e32 v8, 4, v16
	v_mad_u64_u32 v[10:11], null, s8, v16, 0
	global_load_dwordx4 v[4:7], v8, s[6:7]
	s_waitcnt vmcnt(0) lgkmcnt(0)
	v_mul_f64 v[8:9], v[14:15], v[6:7]
	v_mul_f64 v[6:7], v[12:13], v[6:7]
	v_fma_f64 v[8:9], v[12:13], v[4:5], v[8:9]
	v_fma_f64 v[6:7], v[4:5], v[14:15], -v[6:7]
	v_mov_b32_e32 v4, v11
	v_mad_u64_u32 v[11:12], null, s9, v16, v[4:5]
	v_mul_f64 v[4:5], v[8:9], s[2:3]
	v_mul_f64 v[6:7], v[6:7], s[2:3]
	v_lshlrev_b64 v[8:9], 4, v[10:11]
	v_add_co_u32 v8, vcc_lo, v2, v8
	v_add_co_ci_u32_e32 v9, vcc_lo, v3, v9, vcc_lo
	v_add_co_u32 v0, vcc_lo, v0, s1
	v_add_co_ci_u32_e32 v1, vcc_lo, s0, v1, vcc_lo
	global_store_dwordx4 v[8:9], v[4:7], off
	global_load_dwordx4 v[4:7], v[18:19], off offset:912
	ds_read_b128 v[8:11], v76 offset:2960
	ds_read_b128 v[12:15], v76 offset:3296
	s_waitcnt vmcnt(0) lgkmcnt(1)
	v_mul_f64 v[16:17], v[10:11], v[6:7]
	v_mul_f64 v[6:7], v[8:9], v[6:7]
	v_fma_f64 v[8:9], v[8:9], v[4:5], v[16:17]
	v_fma_f64 v[6:7], v[4:5], v[10:11], -v[6:7]
	v_mul_f64 v[4:5], v[8:9], s[2:3]
	v_mul_f64 v[6:7], v[6:7], s[2:3]
	global_store_dwordx4 v[0:1], v[4:7], off
	global_load_dwordx4 v[4:7], v[18:19], off offset:1248
	v_add_co_u32 v0, vcc_lo, v0, s4
	v_add_co_ci_u32_e32 v1, vcc_lo, s5, v1, vcc_lo
	s_waitcnt vmcnt(0) lgkmcnt(0)
	v_mul_f64 v[8:9], v[14:15], v[6:7]
	v_mul_f64 v[6:7], v[12:13], v[6:7]
	v_fma_f64 v[8:9], v[12:13], v[4:5], v[8:9]
	v_fma_f64 v[6:7], v[4:5], v[14:15], -v[6:7]
	v_mul_f64 v[4:5], v[8:9], s[2:3]
	v_mul_f64 v[6:7], v[6:7], s[2:3]
	global_store_dwordx4 v[0:1], v[4:7], off
	global_load_dwordx4 v[4:7], v[18:19], off offset:1584
	ds_read_b128 v[8:11], v76 offset:3632
	ds_read_b128 v[12:15], v76 offset:3968
	v_add_co_u32 v0, vcc_lo, v0, s4
	v_add_co_ci_u32_e32 v1, vcc_lo, s5, v1, vcc_lo
	s_waitcnt vmcnt(0) lgkmcnt(1)
	v_mul_f64 v[16:17], v[10:11], v[6:7]
	v_mul_f64 v[6:7], v[8:9], v[6:7]
	v_fma_f64 v[8:9], v[8:9], v[4:5], v[16:17]
	buffer_load_dword v16, off, s[60:63], 0 offset:696 ; 4-byte Folded Reload
	v_fma_f64 v[6:7], v[4:5], v[10:11], -v[6:7]
	v_mul_f64 v[4:5], v[8:9], s[2:3]
	v_mul_f64 v[6:7], v[6:7], s[2:3]
	global_store_dwordx4 v[0:1], v[4:7], off
	s_waitcnt vmcnt(0)
	v_lshlrev_b32_e32 v8, 4, v16
	v_mad_u64_u32 v[10:11], null, s8, v16, 0
	global_load_dwordx4 v[4:7], v8, s[6:7]
	s_waitcnt vmcnt(0) lgkmcnt(0)
	v_mul_f64 v[8:9], v[14:15], v[6:7]
	v_mul_f64 v[6:7], v[12:13], v[6:7]
	v_fma_f64 v[8:9], v[12:13], v[4:5], v[8:9]
	v_fma_f64 v[6:7], v[4:5], v[14:15], -v[6:7]
	v_mov_b32_e32 v4, v11
	v_mad_u64_u32 v[11:12], null, s9, v16, v[4:5]
	v_mul_f64 v[4:5], v[8:9], s[2:3]
	v_mul_f64 v[6:7], v[6:7], s[2:3]
	v_lshlrev_b64 v[8:9], 4, v[10:11]
	v_add_co_u32 v8, vcc_lo, v2, v8
	v_add_co_ci_u32_e32 v9, vcc_lo, v3, v9, vcc_lo
	v_add_co_u32 v0, vcc_lo, v0, s1
	v_add_co_ci_u32_e32 v1, vcc_lo, s0, v1, vcc_lo
	global_store_dwordx4 v[8:9], v[4:7], off
	s_clause 0x1
	buffer_load_dword v18, off, s[60:63], 0 offset:212
	buffer_load_dword v19, off, s[60:63], 0 offset:216
	s_waitcnt vmcnt(0)
	global_load_dwordx4 v[4:7], v[18:19], off offset:208
	ds_read_b128 v[8:11], v76 offset:4304
	ds_read_b128 v[12:15], v76 offset:4640
	s_waitcnt vmcnt(0) lgkmcnt(1)
	v_mul_f64 v[16:17], v[10:11], v[6:7]
	v_mul_f64 v[6:7], v[8:9], v[6:7]
	v_fma_f64 v[8:9], v[8:9], v[4:5], v[16:17]
	v_fma_f64 v[6:7], v[4:5], v[10:11], -v[6:7]
	v_mul_f64 v[4:5], v[8:9], s[2:3]
	v_mul_f64 v[6:7], v[6:7], s[2:3]
	global_store_dwordx4 v[0:1], v[4:7], off
	global_load_dwordx4 v[4:7], v[18:19], off offset:544
	v_add_co_u32 v0, vcc_lo, v0, s4
	v_add_co_ci_u32_e32 v1, vcc_lo, s5, v1, vcc_lo
	s_waitcnt vmcnt(0) lgkmcnt(0)
	v_mul_f64 v[8:9], v[14:15], v[6:7]
	v_mul_f64 v[6:7], v[12:13], v[6:7]
	v_fma_f64 v[8:9], v[12:13], v[4:5], v[8:9]
	v_fma_f64 v[6:7], v[4:5], v[14:15], -v[6:7]
	v_mul_f64 v[4:5], v[8:9], s[2:3]
	v_mul_f64 v[6:7], v[6:7], s[2:3]
	global_store_dwordx4 v[0:1], v[4:7], off
	global_load_dwordx4 v[4:7], v[18:19], off offset:880
	ds_read_b128 v[8:11], v76 offset:4976
	ds_read_b128 v[12:15], v76 offset:5312
	s_waitcnt vmcnt(0) lgkmcnt(1)
	v_mul_f64 v[16:17], v[10:11], v[6:7]
	v_mul_f64 v[6:7], v[8:9], v[6:7]
	v_fma_f64 v[8:9], v[8:9], v[4:5], v[16:17]
	buffer_load_dword v16, off, s[60:63], 0 offset:692 ; 4-byte Folded Reload
	v_fma_f64 v[6:7], v[4:5], v[10:11], -v[6:7]
	v_mul_f64 v[4:5], v[8:9], s[2:3]
	v_add_co_u32 v8, vcc_lo, v0, s4
	v_mul_f64 v[6:7], v[6:7], s[2:3]
	v_add_co_ci_u32_e32 v9, vcc_lo, s5, v1, vcc_lo
	global_store_dwordx4 v[8:9], v[4:7], off
	s_waitcnt vmcnt(0)
	v_lshlrev_b32_e32 v0, 4, v16
	v_mad_u64_u32 v[10:11], null, s8, v16, 0
	global_load_dwordx4 v[4:7], v0, s[6:7]
	s_waitcnt vmcnt(0) lgkmcnt(0)
	v_mul_f64 v[0:1], v[14:15], v[6:7]
	v_mul_f64 v[6:7], v[12:13], v[6:7]
	v_fma_f64 v[0:1], v[12:13], v[4:5], v[0:1]
	v_fma_f64 v[6:7], v[4:5], v[14:15], -v[6:7]
	v_mov_b32_e32 v4, v11
	v_mad_u64_u32 v[11:12], null, s9, v16, v[4:5]
	v_mul_f64 v[4:5], v[0:1], s[2:3]
	v_mul_f64 v[6:7], v[6:7], s[2:3]
	v_lshlrev_b64 v[0:1], 4, v[10:11]
	v_add_co_u32 v0, vcc_lo, v2, v0
	v_add_co_ci_u32_e32 v1, vcc_lo, v3, v1, vcc_lo
	global_store_dwordx4 v[0:1], v[4:7], off
	global_load_dwordx4 v[0:3], v[18:19], off offset:1552
	ds_read_b128 v[4:7], v76 offset:5648
	s_waitcnt vmcnt(0) lgkmcnt(0)
	v_mul_f64 v[10:11], v[6:7], v[2:3]
	v_mul_f64 v[2:3], v[4:5], v[2:3]
	v_fma_f64 v[4:5], v[4:5], v[0:1], v[10:11]
	v_fma_f64 v[2:3], v[0:1], v[6:7], -v[2:3]
	v_mul_f64 v[0:1], v[4:5], s[2:3]
	v_mul_f64 v[2:3], v[2:3], s[2:3]
	v_add_co_u32 v4, vcc_lo, v8, s1
	v_add_co_ci_u32_e32 v5, vcc_lo, s0, v9, vcc_lo
	global_store_dwordx4 v[4:5], v[0:3], off
.LBB0_15:
	s_endpgm
	.section	.rodata,"a",@progbits
	.p2align	6, 0x0
	.amdhsa_kernel bluestein_single_back_len357_dim1_dp_op_CI_CI
		.amdhsa_group_segment_fixed_size 62832
		.amdhsa_private_segment_fixed_size 844
		.amdhsa_kernarg_size 104
		.amdhsa_user_sgpr_count 6
		.amdhsa_user_sgpr_private_segment_buffer 1
		.amdhsa_user_sgpr_dispatch_ptr 0
		.amdhsa_user_sgpr_queue_ptr 0
		.amdhsa_user_sgpr_kernarg_segment_ptr 1
		.amdhsa_user_sgpr_dispatch_id 0
		.amdhsa_user_sgpr_flat_scratch_init 0
		.amdhsa_user_sgpr_private_segment_size 0
		.amdhsa_wavefront_size32 1
		.amdhsa_uses_dynamic_stack 0
		.amdhsa_system_sgpr_private_segment_wavefront_offset 1
		.amdhsa_system_sgpr_workgroup_id_x 1
		.amdhsa_system_sgpr_workgroup_id_y 0
		.amdhsa_system_sgpr_workgroup_id_z 0
		.amdhsa_system_sgpr_workgroup_info 0
		.amdhsa_system_vgpr_workitem_id 0
		.amdhsa_next_free_vgpr 256
		.amdhsa_next_free_sgpr 64
		.amdhsa_reserve_vcc 1
		.amdhsa_reserve_flat_scratch 0
		.amdhsa_float_round_mode_32 0
		.amdhsa_float_round_mode_16_64 0
		.amdhsa_float_denorm_mode_32 3
		.amdhsa_float_denorm_mode_16_64 3
		.amdhsa_dx10_clamp 1
		.amdhsa_ieee_mode 1
		.amdhsa_fp16_overflow 0
		.amdhsa_workgroup_processor_mode 1
		.amdhsa_memory_ordered 1
		.amdhsa_forward_progress 0
		.amdhsa_shared_vgpr_count 0
		.amdhsa_exception_fp_ieee_invalid_op 0
		.amdhsa_exception_fp_denorm_src 0
		.amdhsa_exception_fp_ieee_div_zero 0
		.amdhsa_exception_fp_ieee_overflow 0
		.amdhsa_exception_fp_ieee_underflow 0
		.amdhsa_exception_fp_ieee_inexact 0
		.amdhsa_exception_int_div_zero 0
	.end_amdhsa_kernel
	.text
.Lfunc_end0:
	.size	bluestein_single_back_len357_dim1_dp_op_CI_CI, .Lfunc_end0-bluestein_single_back_len357_dim1_dp_op_CI_CI
                                        ; -- End function
	.section	.AMDGPU.csdata,"",@progbits
; Kernel info:
; codeLenInByte = 49176
; NumSgprs: 66
; NumVgprs: 256
; ScratchSize: 844
; MemoryBound: 0
; FloatMode: 240
; IeeeMode: 1
; LDSByteSize: 62832 bytes/workgroup (compile time only)
; SGPRBlocks: 8
; VGPRBlocks: 31
; NumSGPRsForWavesPerEU: 66
; NumVGPRsForWavesPerEU: 256
; Occupancy: 3
; WaveLimiterHint : 1
; COMPUTE_PGM_RSRC2:SCRATCH_EN: 1
; COMPUTE_PGM_RSRC2:USER_SGPR: 6
; COMPUTE_PGM_RSRC2:TRAP_HANDLER: 0
; COMPUTE_PGM_RSRC2:TGID_X_EN: 1
; COMPUTE_PGM_RSRC2:TGID_Y_EN: 0
; COMPUTE_PGM_RSRC2:TGID_Z_EN: 0
; COMPUTE_PGM_RSRC2:TIDIG_COMP_CNT: 0
	.text
	.p2alignl 6, 3214868480
	.fill 48, 4, 3214868480
	.type	__hip_cuid_ca696b6dce8a4d2d,@object ; @__hip_cuid_ca696b6dce8a4d2d
	.section	.bss,"aw",@nobits
	.globl	__hip_cuid_ca696b6dce8a4d2d
__hip_cuid_ca696b6dce8a4d2d:
	.byte	0                               ; 0x0
	.size	__hip_cuid_ca696b6dce8a4d2d, 1

	.ident	"AMD clang version 19.0.0git (https://github.com/RadeonOpenCompute/llvm-project roc-6.4.0 25133 c7fe45cf4b819c5991fe208aaa96edf142730f1d)"
	.section	".note.GNU-stack","",@progbits
	.addrsig
	.addrsig_sym __hip_cuid_ca696b6dce8a4d2d
	.amdgpu_metadata
---
amdhsa.kernels:
  - .args:
      - .actual_access:  read_only
        .address_space:  global
        .offset:         0
        .size:           8
        .value_kind:     global_buffer
      - .actual_access:  read_only
        .address_space:  global
        .offset:         8
        .size:           8
        .value_kind:     global_buffer
      - .actual_access:  read_only
        .address_space:  global
        .offset:         16
        .size:           8
        .value_kind:     global_buffer
      - .actual_access:  read_only
        .address_space:  global
        .offset:         24
        .size:           8
        .value_kind:     global_buffer
      - .actual_access:  read_only
        .address_space:  global
        .offset:         32
        .size:           8
        .value_kind:     global_buffer
      - .offset:         40
        .size:           8
        .value_kind:     by_value
      - .address_space:  global
        .offset:         48
        .size:           8
        .value_kind:     global_buffer
      - .address_space:  global
        .offset:         56
        .size:           8
        .value_kind:     global_buffer
      - .address_space:  global
        .offset:         64
        .size:           8
        .value_kind:     global_buffer
      - .address_space:  global
        .offset:         72
        .size:           8
        .value_kind:     global_buffer
      - .offset:         80
        .size:           4
        .value_kind:     by_value
      - .address_space:  global
        .offset:         88
        .size:           8
        .value_kind:     global_buffer
      - .address_space:  global
        .offset:         96
        .size:           8
        .value_kind:     global_buffer
    .group_segment_fixed_size: 62832
    .kernarg_segment_align: 8
    .kernarg_segment_size: 104
    .language:       OpenCL C
    .language_version:
      - 2
      - 0
    .max_flat_workgroup_size: 187
    .name:           bluestein_single_back_len357_dim1_dp_op_CI_CI
    .private_segment_fixed_size: 844
    .sgpr_count:     66
    .sgpr_spill_count: 0
    .symbol:         bluestein_single_back_len357_dim1_dp_op_CI_CI.kd
    .uniform_work_group_size: 1
    .uses_dynamic_stack: false
    .vgpr_count:     256
    .vgpr_spill_count: 294
    .wavefront_size: 32
    .workgroup_processor_mode: 1
amdhsa.target:   amdgcn-amd-amdhsa--gfx1030
amdhsa.version:
  - 1
  - 2
...

	.end_amdgpu_metadata
